;; amdgpu-corpus repo=ROCm/rocFFT kind=compiled arch=gfx906 opt=O3
	.text
	.amdgcn_target "amdgcn-amd-amdhsa--gfx906"
	.amdhsa_code_object_version 6
	.protected	bluestein_single_back_len1625_dim1_dp_op_CI_CI ; -- Begin function bluestein_single_back_len1625_dim1_dp_op_CI_CI
	.globl	bluestein_single_back_len1625_dim1_dp_op_CI_CI
	.p2align	8
	.type	bluestein_single_back_len1625_dim1_dp_op_CI_CI,@function
bluestein_single_back_len1625_dim1_dp_op_CI_CI: ; @bluestein_single_back_len1625_dim1_dp_op_CI_CI
; %bb.0:
	s_load_dwordx4 s[8:11], s[4:5], 0x28
	v_mul_u32_u24_e32 v1, 0x3f1, v0
	s_mov_b64 s[54:55], s[2:3]
	v_lshrrev_b32_e32 v12, 16, v1
	s_mov_b64 s[52:53], s[0:1]
	v_lshl_add_u32 v4, s6, 1, v12
	v_mov_b32_e32 v5, 0
	s_add_u32 s52, s52, s7
	s_waitcnt lgkmcnt(0)
	v_cmp_gt_u64_e32 vcc, s[8:9], v[4:5]
	s_addc_u32 s53, s53, 0
	s_and_saveexec_b64 s[0:1], vcc
	s_cbranch_execz .LBB0_15
; %bb.1:
	s_load_dwordx4 s[0:3], s[4:5], 0x18
	v_mul_lo_u16_e32 v1, 0x41, v12
	v_sub_u16_e32 v134, v0, v1
	v_mov_b32_e32 v5, v4
	v_lshlrev_b32_e32 v81, 4, v134
	s_waitcnt lgkmcnt(0)
	s_load_dwordx4 s[12:15], s[0:1], 0x0
	buffer_store_dword v5, off, s[52:55], 0 offset:4 ; 4-byte Folded Spill
	s_nop 0
	buffer_store_dword v6, off, s[52:55], 0 offset:8 ; 4-byte Folded Spill
	v_and_b32_e32 v82, 1, v12
	v_mov_b32_e32 v83, 0x659
	s_waitcnt lgkmcnt(0)
	v_mad_u64_u32 v[0:1], s[0:1], s14, v4, 0
	v_mad_u64_u32 v[2:3], s[0:1], s12, v134, 0
	s_mul_i32 s6, s13, 0x7d
	s_mul_hi_u32 s7, s12, 0x7d
	v_mad_u64_u32 v[4:5], s[0:1], s15, v4, v[1:2]
	s_load_dwordx2 s[14:15], s[4:5], 0x0
	s_add_i32 s7, s7, s6
	v_mad_u64_u32 v[5:6], s[0:1], s13, v134, v[3:4]
	v_mov_b32_e32 v1, v4
	v_lshlrev_b64 v[0:1], 4, v[0:1]
	v_mov_b32_e32 v3, v5
	v_mov_b32_e32 v6, s11
	v_lshlrev_b64 v[2:3], 4, v[2:3]
	v_add_co_u32_e32 v0, vcc, s10, v0
	v_addc_co_u32_e32 v1, vcc, v6, v1, vcc
	v_add_co_u32_e32 v0, vcc, v0, v2
	s_waitcnt lgkmcnt(0)
	v_mov_b32_e32 v2, s15
	v_add_co_u32_e64 v128, s[0:1], s14, v81
	s_mul_i32 s6, s12, 0x7d
	v_addc_co_u32_e32 v1, vcc, v1, v3, vcc
	v_addc_co_u32_e64 v129, vcc, 0, v2, s[0:1]
	s_lshl_b64 s[16:17], s[6:7], 4
	v_mov_b32_e32 v61, s17
	v_add_co_u32_e32 v2, vcc, s16, v0
	v_addc_co_u32_e32 v3, vcc, v1, v61, vcc
	global_load_dwordx4 v[13:16], v[0:1], off
	global_load_dwordx4 v[17:20], v[2:3], off
	global_load_dwordx4 v[69:72], v81, s[14:15]
	global_load_dwordx4 v[112:115], v81, s[14:15] offset:2000
	v_add_co_u32_e32 v0, vcc, s16, v2
	v_addc_co_u32_e32 v1, vcc, v3, v61, vcc
	v_add_co_u32_e32 v2, vcc, s16, v0
	v_addc_co_u32_e32 v3, vcc, v1, v61, vcc
	s_movk_i32 s6, 0x1000
	global_load_dwordx4 v[88:91], v81, s[14:15] offset:4000
	global_load_dwordx4 v[21:24], v[0:1], off
	global_load_dwordx4 v[25:28], v[2:3], off
	v_add_co_u32_e32 v0, vcc, s6, v128
	v_addc_co_u32_e32 v1, vcc, 0, v129, vcc
	v_add_co_u32_e32 v2, vcc, s16, v2
	v_addc_co_u32_e32 v3, vcc, v3, v61, vcc
	;; [unrolled: 2-line block ×3, first 2 shown]
	s_movk_i32 s6, 0x2000
	global_load_dwordx4 v[29:32], v[2:3], off
	global_load_dwordx4 v[116:119], v[0:1], off offset:1904
	global_load_dwordx4 v[92:95], v[0:1], off offset:3904
	v_add_co_u32_e32 v2, vcc, s6, v128
	v_addc_co_u32_e32 v3, vcc, 0, v129, vcc
	global_load_dwordx4 v[33:36], v[4:5], off
	v_add_co_u32_e32 v4, vcc, s16, v4
	v_addc_co_u32_e32 v5, vcc, v5, v61, vcc
	v_add_co_u32_e32 v6, vcc, s16, v4
	v_addc_co_u32_e32 v7, vcc, v5, v61, vcc
	s_movk_i32 s6, 0x3000
	global_load_dwordx4 v[37:40], v[4:5], off
	global_load_dwordx4 v[120:123], v[2:3], off offset:1808
	global_load_dwordx4 v[96:99], v[2:3], off offset:3808
	v_add_co_u32_e32 v4, vcc, s6, v128
	v_addc_co_u32_e32 v5, vcc, 0, v129, vcc
	global_load_dwordx4 v[41:44], v[6:7], off
	v_add_co_u32_e32 v6, vcc, s16, v6
	v_addc_co_u32_e32 v7, vcc, v7, v61, vcc
	v_add_co_u32_e32 v8, vcc, s16, v6
	v_addc_co_u32_e32 v9, vcc, v7, v61, vcc
	;; [unrolled: 11-line block ×3, first 2 shown]
	s_movk_i32 s6, 0x5000
	global_load_dwordx4 v[53:56], v[8:9], off
	global_load_dwordx4 v[130:133], v[6:7], off offset:1616
	global_load_dwordx4 v[84:87], v[6:7], off offset:3616
	v_add_co_u32_e32 v8, vcc, s6, v128
	v_addc_co_u32_e32 v9, vcc, 0, v129, vcc
	global_load_dwordx4 v[57:60], v[10:11], off
	v_add_co_u32_e32 v10, vcc, s16, v10
	v_addc_co_u32_e32 v11, vcc, v11, v61, vcc
	s_waitcnt vmcnt(20)
	v_mul_f64 v[65:66], v[15:16], v[71:72]
	global_load_dwordx4 v[104:107], v[8:9], off offset:1520
	global_load_dwordx4 v[61:64], v[10:11], off
	global_load_dwordx4 v[108:111], v[8:9], off offset:3520
	v_mul_f64 v[67:68], v[13:14], v[71:72]
	s_load_dwordx2 s[6:7], s[4:5], 0x38
	s_load_dwordx4 s[8:11], s[2:3], 0x0
	v_cmp_eq_u32_e32 vcc, 1, v82
	v_fma_f64 v[12:13], v[13:14], v[69:70], v[65:66]
	buffer_store_dword v69, off, s[52:55], 0 offset:204 ; 4-byte Folded Spill
	s_nop 0
	buffer_store_dword v70, off, s[52:55], 0 offset:208 ; 4-byte Folded Spill
	buffer_store_dword v71, off, s[52:55], 0 offset:212 ; 4-byte Folded Spill
	;; [unrolled: 1-line block ×3, first 2 shown]
	s_waitcnt vmcnt(26)
	v_mul_f64 v[65:66], v[19:20], v[114:115]
	s_waitcnt vmcnt(24)
	v_mul_f64 v[71:72], v[21:22], v[90:91]
	;; [unrolled: 2-line block ×3, first 2 shown]
	v_mul_f64 v[75:76], v[25:26], v[118:119]
	s_waitcnt vmcnt(20)
	v_mul_f64 v[77:78], v[31:32], v[94:95]
	v_mul_f64 v[79:80], v[29:30], v[94:95]
	v_fma_f64 v[14:15], v[15:16], v[69:70], -v[67:68]
	v_mul_f64 v[67:68], v[17:18], v[114:115]
	v_fma_f64 v[16:17], v[17:18], v[112:113], v[65:66]
	buffer_store_dword v112, off, s[52:55], 0 offset:124 ; 4-byte Folded Spill
	s_nop 0
	buffer_store_dword v113, off, s[52:55], 0 offset:128 ; 4-byte Folded Spill
	buffer_store_dword v114, off, s[52:55], 0 offset:132 ; 4-byte Folded Spill
	;; [unrolled: 1-line block ×3, first 2 shown]
	v_mul_f64 v[69:70], v[23:24], v[90:91]
	v_fma_f64 v[18:19], v[19:20], v[112:113], -v[67:68]
	v_fma_f64 v[20:21], v[21:22], v[88:89], v[69:70]
	buffer_store_dword v88, off, s[52:55], 0 offset:28 ; 4-byte Folded Spill
	s_nop 0
	buffer_store_dword v89, off, s[52:55], 0 offset:32 ; 4-byte Folded Spill
	buffer_store_dword v90, off, s[52:55], 0 offset:36 ; 4-byte Folded Spill
	buffer_store_dword v91, off, s[52:55], 0 offset:40 ; 4-byte Folded Spill
	v_fma_f64 v[22:23], v[23:24], v[88:89], -v[71:72]
	v_fma_f64 v[24:25], v[25:26], v[116:117], v[73:74]
	buffer_store_dword v116, off, s[52:55], 0 offset:140 ; 4-byte Folded Spill
	s_nop 0
	buffer_store_dword v117, off, s[52:55], 0 offset:144 ; 4-byte Folded Spill
	buffer_store_dword v118, off, s[52:55], 0 offset:148 ; 4-byte Folded Spill
	buffer_store_dword v119, off, s[52:55], 0 offset:152 ; 4-byte Folded Spill
	;; [unrolled: 7-line block ×3, first 2 shown]
	v_fma_f64 v[30:31], v[31:32], v[92:93], -v[79:80]
	v_cndmask_b32_e32 v32, 0, v83, vcc
	v_lshlrev_b32_e32 v194, 4, v32
	v_add_u32_e32 v174, v194, v81
	ds_write_b128 v174, v[12:15]
	ds_write_b128 v174, v[16:19] offset:2000
	ds_write_b128 v174, v[20:23] offset:4000
	;; [unrolled: 1-line block ×4, first 2 shown]
	s_waitcnt vmcnt(33)
	v_mul_f64 v[12:13], v[35:36], v[122:123]
	s_waitcnt vmcnt(32)
	v_mul_f64 v[16:17], v[39:40], v[98:99]
	v_mul_f64 v[14:15], v[33:34], v[122:123]
	;; [unrolled: 1-line block ×3, first 2 shown]
	s_waitcnt vmcnt(29)
	v_mul_f64 v[20:21], v[43:44], v[126:127]
	v_mul_f64 v[22:23], v[41:42], v[126:127]
	s_waitcnt vmcnt(28)
	v_mul_f64 v[24:25], v[47:48], v[102:103]
	s_waitcnt vmcnt(25)
	v_mul_f64 v[28:29], v[51:52], v[132:133]
	v_fma_f64 v[12:13], v[33:34], v[120:121], v[12:13]
	buffer_store_dword v120, off, s[52:55], 0 offset:156 ; 4-byte Folded Spill
	s_nop 0
	buffer_store_dword v121, off, s[52:55], 0 offset:160 ; 4-byte Folded Spill
	buffer_store_dword v122, off, s[52:55], 0 offset:164 ; 4-byte Folded Spill
	buffer_store_dword v123, off, s[52:55], 0 offset:168 ; 4-byte Folded Spill
	v_fma_f64 v[16:17], v[37:38], v[96:97], v[16:17]
	buffer_store_dword v96, off, s[52:55], 0 offset:60 ; 4-byte Folded Spill
	s_nop 0
	buffer_store_dword v97, off, s[52:55], 0 offset:64 ; 4-byte Folded Spill
	buffer_store_dword v98, off, s[52:55], 0 offset:68 ; 4-byte Folded Spill
	buffer_store_dword v99, off, s[52:55], 0 offset:72 ; 4-byte Folded Spill
	;; [unrolled: 6-line block ×3, first 2 shown]
	s_waitcnt vmcnt(36)
	v_mul_f64 v[32:33], v[55:56], v[86:87]
	v_mul_f64 v[26:27], v[45:46], v[102:103]
	v_fma_f64 v[24:25], v[45:46], v[100:101], v[24:25]
	buffer_store_dword v100, off, s[52:55], 0 offset:76 ; 4-byte Folded Spill
	s_nop 0
	buffer_store_dword v101, off, s[52:55], 0 offset:80 ; 4-byte Folded Spill
	buffer_store_dword v102, off, s[52:55], 0 offset:84 ; 4-byte Folded Spill
	;; [unrolled: 1-line block ×3, first 2 shown]
	v_mul_f64 v[30:31], v[49:50], v[132:133]
	v_fma_f64 v[28:29], v[49:50], v[130:131], v[28:29]
	buffer_store_dword v130, off, s[52:55], 0 offset:188 ; 4-byte Folded Spill
	s_nop 0
	buffer_store_dword v131, off, s[52:55], 0 offset:192 ; 4-byte Folded Spill
	buffer_store_dword v132, off, s[52:55], 0 offset:196 ; 4-byte Folded Spill
	;; [unrolled: 1-line block ×3, first 2 shown]
	v_cmp_gt_u16_e32 vcc, 60, v134
	v_fma_f64 v[32:33], v[53:54], v[84:85], v[32:33]
	v_fma_f64 v[14:15], v[35:36], v[120:121], -v[14:15]
	s_waitcnt vmcnt(42)
	v_mul_f64 v[36:37], v[59:60], v[106:107]
	v_fma_f64 v[18:19], v[39:40], v[96:97], -v[18:19]
	s_waitcnt vmcnt(40)
	v_mul_f64 v[40:41], v[63:64], v[110:111]
	v_mul_f64 v[34:35], v[53:54], v[86:87]
	buffer_store_dword v84, off, s[52:55], 0 offset:12 ; 4-byte Folded Spill
	s_nop 0
	buffer_store_dword v85, off, s[52:55], 0 offset:16 ; 4-byte Folded Spill
	buffer_store_dword v86, off, s[52:55], 0 offset:20 ; 4-byte Folded Spill
	;; [unrolled: 1-line block ×3, first 2 shown]
	v_mul_f64 v[38:39], v[57:58], v[106:107]
	v_fma_f64 v[22:23], v[43:44], v[124:125], -v[22:23]
	v_mul_f64 v[42:43], v[61:62], v[110:111]
	v_fma_f64 v[36:37], v[57:58], v[104:105], v[36:37]
	buffer_store_dword v104, off, s[52:55], 0 offset:92 ; 4-byte Folded Spill
	s_nop 0
	buffer_store_dword v105, off, s[52:55], 0 offset:96 ; 4-byte Folded Spill
	buffer_store_dword v106, off, s[52:55], 0 offset:100 ; 4-byte Folded Spill
	;; [unrolled: 1-line block ×3, first 2 shown]
	v_fma_f64 v[40:41], v[61:62], v[108:109], v[40:41]
	buffer_store_dword v108, off, s[52:55], 0 offset:108 ; 4-byte Folded Spill
	s_nop 0
	buffer_store_dword v109, off, s[52:55], 0 offset:112 ; 4-byte Folded Spill
	buffer_store_dword v110, off, s[52:55], 0 offset:116 ; 4-byte Folded Spill
	;; [unrolled: 1-line block ×3, first 2 shown]
	v_fma_f64 v[26:27], v[47:48], v[100:101], -v[26:27]
	v_fma_f64 v[30:31], v[51:52], v[130:131], -v[30:31]
	;; [unrolled: 1-line block ×5, first 2 shown]
	ds_write_b128 v174, v[12:15] offset:10000
	ds_write_b128 v174, v[16:19] offset:12000
	;; [unrolled: 1-line block ×8, first 2 shown]
	buffer_store_dword v134, off, s[52:55], 0 ; 4-byte Folded Spill
	s_and_saveexec_b64 s[18:19], vcc
	s_cbranch_execz .LBB0_3
; %bb.2:
	v_mov_b32_e32 v12, 0xffffa650
	v_mad_u64_u32 v[14:15], s[2:3], s12, v12, v[10:11]
	s_mul_i32 s2, s13, 0xffffa650
	s_sub_i32 s2, s2, s12
	v_add_u32_e32 v15, s2, v15
	v_mov_b32_e32 v100, s17
	v_add_co_u32_e64 v26, s[2:3], s16, v14
	v_addc_co_u32_e64 v27, s[2:3], v15, v100, s[2:3]
	v_add_co_u32_e64 v30, s[2:3], s16, v26
	v_addc_co_u32_e64 v31, s[2:3], v27, v100, s[2:3]
	v_add_co_u32_e64 v42, s[2:3], s16, v30
	global_load_dwordx4 v[10:13], v[14:15], off
	v_addc_co_u32_e64 v43, s[2:3], v31, v100, s[2:3]
	global_load_dwordx4 v[14:17], v[26:27], off
	global_load_dwordx4 v[18:21], v[128:129], off offset:1040
	global_load_dwordx4 v[22:25], v[128:129], off offset:3040
	s_waitcnt vmcnt(0)
	v_mul_f64 v[106:107], v[16:17], v[24:25]
	global_load_dwordx4 v[26:29], v[30:31], off
	s_nop 0
	global_load_dwordx4 v[30:33], v[42:43], off
	global_load_dwordx4 v[34:37], v[0:1], off offset:944
	global_load_dwordx4 v[38:41], v[0:1], off offset:2944
	v_add_co_u32_e64 v0, s[2:3], s16, v42
	v_addc_co_u32_e64 v1, s[2:3], v43, v100, s[2:3]
	global_load_dwordx4 v[42:45], v[0:1], off
	v_add_co_u32_e64 v0, s[2:3], s16, v0
	v_addc_co_u32_e64 v1, s[2:3], v1, v100, s[2:3]
	global_load_dwordx4 v[46:49], v[0:1], off
	global_load_dwordx4 v[50:53], v[2:3], off offset:848
	global_load_dwordx4 v[54:57], v[2:3], off offset:2848
	v_add_co_u32_e64 v58, s[2:3], s16, v0
	v_addc_co_u32_e64 v59, s[2:3], v1, v100, s[2:3]
	v_add_co_u32_e64 v70, s[2:3], s16, v58
	v_addc_co_u32_e64 v71, s[2:3], v59, v100, s[2:3]
	global_load_dwordx4 v[0:3], v[58:59], off
	s_nop 0
	global_load_dwordx4 v[58:61], v[70:71], off
	global_load_dwordx4 v[62:65], v[4:5], off offset:752
	global_load_dwordx4 v[66:69], v[4:5], off offset:2752
	v_add_co_u32_e64 v4, s[2:3], s16, v70
	v_addc_co_u32_e64 v5, s[2:3], v71, v100, s[2:3]
	v_add_co_u32_e64 v82, s[2:3], s16, v4
	global_load_dwordx4 v[70:73], v[4:5], off
	v_addc_co_u32_e64 v83, s[2:3], v5, v100, s[2:3]
	global_load_dwordx4 v[74:77], v[82:83], off
	global_load_dwordx4 v[78:81], v[6:7], off offset:656
	s_nop 0
	global_load_dwordx4 v[4:7], v[6:7], off offset:2656
	v_add_co_u32_e64 v86, s[2:3], s16, v82
	v_addc_co_u32_e64 v87, s[2:3], v83, v100, s[2:3]
	v_add_co_u32_e64 v98, s[2:3], s16, v86
	v_addc_co_u32_e64 v99, s[2:3], v87, v100, s[2:3]
	global_load_dwordx4 v[82:85], v[86:87], off
	s_nop 0
	global_load_dwordx4 v[86:89], v[98:99], off
	global_load_dwordx4 v[90:93], v[8:9], off offset:560
	global_load_dwordx4 v[94:97], v[8:9], off offset:2560
	v_add_co_u32_e64 v8, s[2:3], s16, v98
	v_addc_co_u32_e64 v9, s[2:3], v99, v100, s[2:3]
	s_movk_i32 s2, 0x6000
	v_add_co_u32_e64 v98, s[2:3], s2, v128
	v_addc_co_u32_e64 v99, s[2:3], 0, v129, s[2:3]
	global_load_dwordx4 v[98:101], v[98:99], off offset:464
	s_nop 0
	global_load_dwordx4 v[102:105], v[8:9], off
	v_mul_f64 v[8:9], v[12:13], v[20:21]
	v_mul_f64 v[20:21], v[10:11], v[20:21]
	;; [unrolled: 1-line block ×3, first 2 shown]
	v_fma_f64 v[8:9], v[10:11], v[18:19], v[8:9]
	v_fma_f64 v[10:11], v[12:13], v[18:19], -v[20:21]
	v_fma_f64 v[12:13], v[14:15], v[22:23], v[106:107]
	v_fma_f64 v[14:15], v[16:17], v[22:23], -v[24:25]
	s_waitcnt vmcnt(19)
	v_mul_f64 v[108:109], v[28:29], v[36:37]
	v_mul_f64 v[36:37], v[26:27], v[36:37]
	s_waitcnt vmcnt(18)
	v_mul_f64 v[110:111], v[32:33], v[40:41]
	v_mul_f64 v[40:41], v[30:31], v[40:41]
	v_fma_f64 v[16:17], v[26:27], v[34:35], v[108:109]
	v_fma_f64 v[18:19], v[28:29], v[34:35], -v[36:37]
	s_waitcnt vmcnt(15)
	v_mul_f64 v[112:113], v[44:45], v[52:53]
	v_mul_f64 v[52:53], v[42:43], v[52:53]
	v_fma_f64 v[20:21], v[30:31], v[38:39], v[110:111]
	v_fma_f64 v[22:23], v[32:33], v[38:39], -v[40:41]
	v_fma_f64 v[24:25], v[42:43], v[50:51], v[112:113]
	v_fma_f64 v[26:27], v[44:45], v[50:51], -v[52:53]
	ds_write_b128 v174, v[8:11] offset:1040
	ds_write_b128 v174, v[12:15] offset:3040
	;; [unrolled: 1-line block ×5, first 2 shown]
	s_waitcnt vmcnt(11)
	v_mul_f64 v[12:13], v[2:3], v[64:65]
	s_waitcnt vmcnt(10)
	v_mul_f64 v[16:17], v[60:61], v[68:69]
	v_mul_f64 v[8:9], v[48:49], v[56:57]
	v_mul_f64 v[10:11], v[46:47], v[56:57]
	v_mul_f64 v[14:15], v[0:1], v[64:65]
	v_mul_f64 v[18:19], v[58:59], v[68:69]
	s_waitcnt vmcnt(7)
	v_mul_f64 v[20:21], v[72:73], v[80:81]
	v_mul_f64 v[22:23], v[70:71], v[80:81]
	v_fma_f64 v[0:1], v[0:1], v[62:63], v[12:13]
	v_fma_f64 v[12:13], v[58:59], v[66:67], v[16:17]
	;; [unrolled: 1-line block ×3, first 2 shown]
	v_fma_f64 v[10:11], v[48:49], v[54:55], -v[10:11]
	v_fma_f64 v[2:3], v[2:3], v[62:63], -v[14:15]
	v_fma_f64 v[14:15], v[60:61], v[66:67], -v[18:19]
	v_fma_f64 v[16:17], v[70:71], v[78:79], v[20:21]
	s_waitcnt vmcnt(6)
	v_mul_f64 v[20:21], v[76:77], v[6:7]
	v_mul_f64 v[6:7], v[74:75], v[6:7]
	s_waitcnt vmcnt(3)
	v_mul_f64 v[24:25], v[84:85], v[92:93]
	v_mul_f64 v[26:27], v[82:83], v[92:93]
	;; [unrolled: 3-line block ×3, first 2 shown]
	v_fma_f64 v[18:19], v[72:73], v[78:79], -v[22:23]
	v_fma_f64 v[20:21], v[74:75], v[4:5], v[20:21]
	v_fma_f64 v[22:23], v[76:77], v[4:5], -v[6:7]
	v_fma_f64 v[4:5], v[82:83], v[90:91], v[24:25]
	v_fma_f64 v[6:7], v[84:85], v[90:91], -v[26:27]
	s_waitcnt vmcnt(0)
	v_mul_f64 v[32:33], v[104:105], v[100:101]
	v_mul_f64 v[34:35], v[102:103], v[100:101]
	v_fma_f64 v[24:25], v[86:87], v[94:95], v[28:29]
	v_fma_f64 v[26:27], v[88:89], v[94:95], -v[30:31]
	v_fma_f64 v[28:29], v[102:103], v[98:99], v[32:33]
	v_fma_f64 v[30:31], v[104:105], v[98:99], -v[34:35]
	ds_write_b128 v174, v[8:11] offset:11040
	ds_write_b128 v174, v[0:3] offset:13040
	;; [unrolled: 1-line block ×8, first 2 shown]
.LBB0_3:
	s_or_b64 exec, exec, s[18:19]
	s_waitcnt vmcnt(0) lgkmcnt(0)
	s_barrier
	ds_read_b128 v[96:99], v174
	ds_read_b128 v[100:103], v174 offset:2000
	ds_read_b128 v[88:91], v174 offset:4000
	;; [unrolled: 1-line block ×12, first 2 shown]
	s_load_dwordx2 s[4:5], s[4:5], 0x8
                                        ; implicit-def: $vgpr0_vgpr1
                                        ; implicit-def: $vgpr4_vgpr5
                                        ; implicit-def: $vgpr8_vgpr9
                                        ; implicit-def: $vgpr12_vgpr13
                                        ; implicit-def: $vgpr16_vgpr17
                                        ; implicit-def: $vgpr20_vgpr21
                                        ; implicit-def: $vgpr24_vgpr25
                                        ; implicit-def: $vgpr28_vgpr29
                                        ; implicit-def: $vgpr32_vgpr33
                                        ; implicit-def: $vgpr36_vgpr37
                                        ; implicit-def: $vgpr40_vgpr41
                                        ; implicit-def: $vgpr44_vgpr45
                                        ; implicit-def: $vgpr48_vgpr49
	s_and_saveexec_b64 s[2:3], vcc
	s_cbranch_execz .LBB0_5
; %bb.4:
	ds_read_b128 v[0:3], v174 offset:1040
	ds_read_b128 v[4:7], v174 offset:3040
	ds_read_b128 v[8:11], v174 offset:5040
	ds_read_b128 v[12:15], v174 offset:7040
	ds_read_b128 v[16:19], v174 offset:9040
	ds_read_b128 v[20:23], v174 offset:11040
	ds_read_b128 v[24:27], v174 offset:13040
	ds_read_b128 v[28:31], v174 offset:15040
	ds_read_b128 v[32:35], v174 offset:17040
	ds_read_b128 v[36:39], v174 offset:19040
	ds_read_b128 v[40:43], v174 offset:21040
	ds_read_b128 v[44:47], v174 offset:23040
	ds_read_b128 v[48:51], v174 offset:25040
.LBB0_5:
	s_or_b64 exec, exec, s[2:3]
	s_waitcnt lgkmcnt(0)
	v_add_f64 v[52:53], v[96:97], v[100:101]
	v_add_f64 v[54:55], v[98:99], v[102:103]
	buffer_load_dword v173, off, s[52:55], 0 ; 4-byte Folded Reload
	v_add_f64 v[110:111], v[102:103], v[106:107]
	v_add_f64 v[102:103], v[102:103], -v[106:107]
	s_mov_b32 s20, 0x4267c47c
	s_mov_b32 s22, 0x42a4c3d2
	;; [unrolled: 1-line block ×3, first 2 shown]
	v_add_f64 v[52:53], v[52:53], v[88:89]
	v_add_f64 v[54:55], v[54:55], v[90:91]
	s_mov_b32 s26, 0x2ef20147
	s_mov_b32 s30, 0x24c2f84
	;; [unrolled: 1-line block ×6, first 2 shown]
	v_add_f64 v[52:53], v[52:53], v[80:81]
	v_add_f64 v[54:55], v[54:55], v[82:83]
	s_mov_b32 s27, 0xbfedeba7
	s_mov_b32 s31, 0xbfe5384d
	;; [unrolled: 1-line block ×3, first 2 shown]
	v_add_f64 v[108:109], v[100:101], v[104:105]
	v_add_f64 v[100:101], v[100:101], -v[104:105]
	v_mul_f64 v[116:117], v[102:103], s[22:23]
	v_add_f64 v[52:53], v[52:53], v[72:73]
	v_add_f64 v[54:55], v[54:55], v[74:75]
	v_mul_f64 v[124:125], v[102:103], s[28:29]
	v_mul_f64 v[134:135], v[102:103], s[26:27]
	;; [unrolled: 1-line block ×3, first 2 shown]
	s_movk_i32 s33, 0x41
	s_mov_b32 s12, 0x1ea71119
	s_mov_b32 s16, 0xebaa3ed8
	v_add_f64 v[52:53], v[52:53], v[64:65]
	v_add_f64 v[54:55], v[54:55], v[66:67]
	s_mov_b32 s18, 0xb2365da1
	s_mov_b32 s24, 0xd0032e0c
	;; [unrolled: 1-line block ×6, first 2 shown]
	v_add_f64 v[52:53], v[52:53], v[56:57]
	v_add_f64 v[54:55], v[54:55], v[58:59]
	s_mov_b32 s25, 0xbfe7f3cc
	s_mov_b32 s35, 0xbfef11f4
	v_mul_f64 v[112:113], v[100:101], s[20:21]
	v_fma_f64 v[118:119], v[108:109], s[12:13], -v[116:117]
	v_mul_f64 v[120:121], v[100:101], s[22:23]
	v_fma_f64 v[116:117], v[108:109], s[12:13], v[116:117]
	v_add_f64 v[52:53], v[52:53], v[60:61]
	v_add_f64 v[54:55], v[54:55], v[62:63]
	v_fma_f64 v[126:127], v[108:109], s[16:17], -v[124:125]
	v_mul_f64 v[130:131], v[100:101], s[28:29]
	v_fma_f64 v[124:125], v[108:109], s[16:17], v[124:125]
	v_fma_f64 v[136:137], v[108:109], s[18:19], -v[134:135]
	v_mul_f64 v[138:139], v[100:101], s[26:27]
	v_fma_f64 v[134:135], v[108:109], s[18:19], v[134:135]
	v_add_f64 v[52:53], v[52:53], v[68:69]
	v_add_f64 v[54:55], v[54:55], v[70:71]
	v_fma_f64 v[144:145], v[108:109], s[24:25], -v[142:143]
	v_mul_f64 v[146:147], v[100:101], s[30:31]
	v_fma_f64 v[142:143], v[108:109], s[24:25], v[142:143]
	v_mul_f64 v[100:101], v[100:101], s[36:37]
	v_add_f64 v[118:119], v[96:97], v[118:119]
	v_fma_f64 v[122:123], v[110:111], s[12:13], v[120:121]
	v_add_f64 v[52:53], v[52:53], v[76:77]
	v_add_f64 v[54:55], v[54:55], v[78:79]
	;; [unrolled: 1-line block ×3, first 2 shown]
	v_fma_f64 v[120:121], v[110:111], s[12:13], -v[120:121]
	v_add_f64 v[126:127], v[96:97], v[126:127]
	v_fma_f64 v[132:133], v[110:111], s[16:17], v[130:131]
	v_add_f64 v[124:125], v[96:97], v[124:125]
	v_fma_f64 v[130:131], v[110:111], s[16:17], -v[130:131]
	v_add_f64 v[52:53], v[52:53], v[84:85]
	v_add_f64 v[54:55], v[54:55], v[86:87]
	;; [unrolled: 1-line block ×3, first 2 shown]
	v_fma_f64 v[140:141], v[110:111], s[18:19], v[138:139]
	v_add_f64 v[134:135], v[96:97], v[134:135]
	v_fma_f64 v[138:139], v[110:111], s[18:19], -v[138:139]
	v_add_f64 v[144:145], v[96:97], v[144:145]
	v_fma_f64 v[148:149], v[110:111], s[24:25], v[146:147]
	v_add_f64 v[52:53], v[52:53], v[92:93]
	v_add_f64 v[54:55], v[54:55], v[94:95]
	s_waitcnt vmcnt(0)
	v_add_co_u32_e64 v158, s[2:3], s33, v173
	s_mov_b32 s2, 0xe00740e9
	s_mov_b32 s3, 0x3fec55a7
	v_fma_f64 v[114:115], v[110:111], s[2:3], v[112:113]
	v_fma_f64 v[112:113], v[110:111], s[2:3], -v[112:113]
	v_add_f64 v[52:53], v[52:53], v[104:105]
	v_mul_f64 v[104:105], v[102:103], s[20:21]
	v_mul_f64 v[102:103], v[102:103], s[36:37]
	v_add_f64 v[54:55], v[54:55], v[106:107]
	v_add_f64 v[142:143], v[96:97], v[142:143]
	v_fma_f64 v[146:147], v[110:111], s[24:25], -v[146:147]
	v_fma_f64 v[152:153], v[110:111], s[34:35], v[100:101]
	v_fma_f64 v[100:101], v[110:111], s[34:35], -v[100:101]
	v_add_f64 v[114:115], v[98:99], v[114:115]
	v_fma_f64 v[106:107], v[108:109], s[2:3], -v[104:105]
	v_fma_f64 v[104:105], v[108:109], s[2:3], v[104:105]
	v_fma_f64 v[150:151], v[108:109], s[34:35], -v[102:103]
	v_fma_f64 v[102:103], v[108:109], s[34:35], v[102:103]
	v_add_f64 v[112:113], v[98:99], v[112:113]
	v_add_f64 v[122:123], v[98:99], v[122:123]
	;; [unrolled: 1-line block ×9, first 2 shown]
	v_add_f64 v[90:91], v[90:91], -v[94:95]
	v_add_f64 v[130:131], v[98:99], v[130:131]
	v_add_f64 v[140:141], v[98:99], v[140:141]
	;; [unrolled: 1-line block ×8, first 2 shown]
	v_add_f64 v[88:89], v[88:89], -v[92:93]
	v_mul_f64 v[92:93], v[90:91], s[22:23]
	s_mov_b32 s39, 0x3fe5384d
	s_mov_b32 s38, s30
	;; [unrolled: 1-line block ×7, first 2 shown]
	v_fma_f64 v[94:95], v[100:101], s[12:13], -v[92:93]
	v_fma_f64 v[92:93], v[100:101], s[12:13], v[92:93]
	s_mov_b32 s44, s26
	s_mov_b32 s47, 0x3fcea1e5
	s_mov_b32 s46, s36
	s_mov_b32 s49, 0x3fea55e2
	s_mov_b32 s48, s22
	v_add_f64 v[154:155], v[26:27], v[30:31]
	v_add_f64 v[94:95], v[94:95], v[106:107]
	v_mul_f64 v[106:107], v[88:89], s[22:23]
	v_add_f64 v[92:93], v[92:93], v[104:105]
	s_barrier
	v_fma_f64 v[108:109], v[102:103], s[12:13], v[106:107]
	v_fma_f64 v[104:105], v[102:103], s[12:13], -v[106:107]
	v_mul_f64 v[106:107], v[90:91], s[26:27]
	v_add_f64 v[108:109], v[108:109], v[114:115]
	v_add_f64 v[104:105], v[104:105], v[112:113]
	v_fma_f64 v[110:111], v[100:101], s[18:19], -v[106:107]
	v_mul_f64 v[112:113], v[88:89], s[26:27]
	v_fma_f64 v[106:107], v[100:101], s[18:19], v[106:107]
	v_add_f64 v[110:111], v[110:111], v[118:119]
	v_fma_f64 v[114:115], v[102:103], s[18:19], v[112:113]
	v_add_f64 v[106:107], v[106:107], v[116:117]
	v_fma_f64 v[112:113], v[102:103], s[18:19], -v[112:113]
	v_mul_f64 v[116:117], v[90:91], s[36:37]
	v_add_f64 v[114:115], v[114:115], v[122:123]
	v_add_f64 v[112:113], v[112:113], v[120:121]
	v_fma_f64 v[118:119], v[100:101], s[34:35], -v[116:117]
	v_mul_f64 v[120:121], v[88:89], s[36:37]
	v_fma_f64 v[116:117], v[100:101], s[34:35], v[116:117]
	v_add_f64 v[118:119], v[118:119], v[126:127]
	v_fma_f64 v[122:123], v[102:103], s[34:35], v[120:121]
	v_add_f64 v[116:117], v[116:117], v[124:125]
	;; [unrolled: 10-line block ×3, first 2 shown]
	v_fma_f64 v[130:131], v[102:103], s[24:25], -v[130:131]
	v_mul_f64 v[134:135], v[90:91], s[40:41]
	v_mul_f64 v[90:91], v[90:91], s[42:43]
	v_add_f64 v[132:133], v[132:133], v[140:141]
	v_add_f64 v[130:131], v[130:131], v[138:139]
	v_fma_f64 v[136:137], v[100:101], s[16:17], -v[134:135]
	v_mul_f64 v[138:139], v[88:89], s[40:41]
	v_mul_f64 v[88:89], v[88:89], s[42:43]
	v_fma_f64 v[134:135], v[100:101], s[16:17], v[134:135]
	v_add_f64 v[136:137], v[136:137], v[144:145]
	v_fma_f64 v[140:141], v[102:103], s[16:17], v[138:139]
	v_fma_f64 v[144:145], v[102:103], s[2:3], v[88:89]
	v_fma_f64 v[88:89], v[102:103], s[2:3], -v[88:89]
	v_add_f64 v[134:135], v[134:135], v[142:143]
	v_fma_f64 v[142:143], v[100:101], s[2:3], -v[90:91]
	v_fma_f64 v[90:91], v[100:101], s[2:3], v[90:91]
	v_fma_f64 v[138:139], v[102:103], s[16:17], -v[138:139]
	v_add_f64 v[140:141], v[140:141], v[148:149]
	v_add_f64 v[144:145], v[144:145], v[152:153]
	;; [unrolled: 1-line block ×4, first 2 shown]
	v_add_f64 v[82:83], v[82:83], -v[86:87]
	v_add_f64 v[90:91], v[90:91], v[96:97]
	v_add_f64 v[96:97], v[80:81], v[84:85]
	v_add_f64 v[80:81], v[80:81], -v[84:85]
	v_add_f64 v[138:139], v[138:139], v[146:147]
	v_add_f64 v[142:143], v[142:143], v[150:151]
	v_mul_f64 v[84:85], v[82:83], s[28:29]
	v_fma_f64 v[86:87], v[96:97], s[16:17], -v[84:85]
	v_fma_f64 v[84:85], v[96:97], s[16:17], v[84:85]
	v_add_f64 v[86:87], v[86:87], v[94:95]
	v_mul_f64 v[94:95], v[80:81], s[28:29]
	v_add_f64 v[84:85], v[84:85], v[92:93]
	v_fma_f64 v[100:101], v[98:99], s[16:17], v[94:95]
	v_fma_f64 v[92:93], v[98:99], s[16:17], -v[94:95]
	v_mul_f64 v[94:95], v[82:83], s[36:37]
	v_add_f64 v[100:101], v[100:101], v[108:109]
	v_add_f64 v[92:93], v[92:93], v[104:105]
	v_fma_f64 v[102:103], v[96:97], s[34:35], -v[94:95]
	v_fma_f64 v[94:95], v[96:97], s[34:35], v[94:95]
	v_mul_f64 v[104:105], v[80:81], s[36:37]
	v_add_f64 v[102:103], v[102:103], v[110:111]
	v_add_f64 v[94:95], v[94:95], v[106:107]
	v_mul_f64 v[106:107], v[82:83], s[44:45]
	v_fma_f64 v[108:109], v[98:99], s[34:35], v[104:105]
	v_fma_f64 v[104:105], v[98:99], s[34:35], -v[104:105]
	v_fma_f64 v[110:111], v[96:97], s[18:19], -v[106:107]
	v_fma_f64 v[106:107], v[96:97], s[18:19], v[106:107]
	v_add_f64 v[104:105], v[104:105], v[112:113]
	v_mul_f64 v[112:113], v[80:81], s[44:45]
	v_add_f64 v[108:109], v[108:109], v[114:115]
	v_add_f64 v[110:111], v[110:111], v[118:119]
	;; [unrolled: 1-line block ×3, first 2 shown]
	v_mul_f64 v[116:117], v[82:83], s[42:43]
	v_fma_f64 v[114:115], v[98:99], s[18:19], v[112:113]
	v_fma_f64 v[112:113], v[98:99], s[18:19], -v[112:113]
	v_fma_f64 v[118:119], v[96:97], s[2:3], -v[116:117]
	v_fma_f64 v[116:117], v[96:97], s[2:3], v[116:117]
	v_add_f64 v[112:113], v[112:113], v[120:121]
	v_mul_f64 v[120:121], v[80:81], s[42:43]
	v_add_f64 v[114:115], v[114:115], v[122:123]
	v_add_f64 v[118:119], v[118:119], v[126:127]
	;; [unrolled: 1-line block ×3, first 2 shown]
	v_mul_f64 v[124:125], v[82:83], s[22:23]
	v_fma_f64 v[122:123], v[98:99], s[2:3], v[120:121]
	v_fma_f64 v[120:121], v[98:99], s[2:3], -v[120:121]
	v_mul_f64 v[82:83], v[82:83], s[30:31]
	v_fma_f64 v[126:127], v[96:97], s[12:13], -v[124:125]
	v_fma_f64 v[124:125], v[96:97], s[12:13], v[124:125]
	v_add_f64 v[120:121], v[120:121], v[130:131]
	v_mul_f64 v[130:131], v[80:81], s[22:23]
	v_mul_f64 v[80:81], v[80:81], s[30:31]
	v_add_f64 v[122:123], v[122:123], v[132:133]
	v_add_f64 v[126:127], v[126:127], v[136:137]
	;; [unrolled: 1-line block ×3, first 2 shown]
	v_fma_f64 v[134:135], v[96:97], s[24:25], -v[82:83]
	v_fma_f64 v[82:83], v[96:97], s[24:25], v[82:83]
	v_fma_f64 v[136:137], v[98:99], s[24:25], v[80:81]
	v_fma_f64 v[80:81], v[98:99], s[24:25], -v[80:81]
	v_fma_f64 v[132:133], v[98:99], s[12:13], v[130:131]
	v_fma_f64 v[130:131], v[98:99], s[12:13], -v[130:131]
	v_add_f64 v[134:135], v[134:135], v[142:143]
	v_add_f64 v[82:83], v[82:83], v[90:91]
	;; [unrolled: 1-line block ×3, first 2 shown]
	v_add_f64 v[74:75], v[74:75], -v[78:79]
	v_add_f64 v[80:81], v[80:81], v[88:89]
	v_add_f64 v[88:89], v[72:73], v[76:77]
	v_add_f64 v[72:73], v[72:73], -v[76:77]
	v_add_f64 v[132:133], v[132:133], v[140:141]
	v_add_f64 v[130:131], v[130:131], v[138:139]
	v_add_f64 v[136:137], v[136:137], v[144:145]
	v_add_f64 v[140:141], v[18:19], v[38:39]
	v_mul_f64 v[76:77], v[74:75], s[26:27]
	v_add_f64 v[142:143], v[22:23], v[34:35]
	v_add_f64 v[138:139], v[26:27], -v[30:31]
	v_mul_f64 v[98:99], v[72:73], s[38:39]
	v_fma_f64 v[78:79], v[88:89], s[18:19], -v[76:77]
	v_fma_f64 v[76:77], v[88:89], s[18:19], v[76:77]
	v_add_f64 v[78:79], v[78:79], v[86:87]
	v_mul_f64 v[86:87], v[72:73], s[26:27]
	v_add_f64 v[76:77], v[76:77], v[84:85]
	v_fma_f64 v[96:97], v[90:91], s[18:19], v[86:87]
	v_fma_f64 v[84:85], v[90:91], s[18:19], -v[86:87]
	v_mul_f64 v[86:87], v[74:75], s[38:39]
	v_add_f64 v[96:97], v[96:97], v[100:101]
	v_add_f64 v[84:85], v[84:85], v[92:93]
	v_fma_f64 v[92:93], v[88:89], s[24:25], -v[86:87]
	v_fma_f64 v[86:87], v[88:89], s[24:25], v[86:87]
	v_fma_f64 v[100:101], v[90:91], s[24:25], v[98:99]
	v_add_f64 v[92:93], v[92:93], v[102:103]
	v_add_f64 v[86:87], v[86:87], v[94:95]
	v_fma_f64 v[94:95], v[90:91], s[24:25], -v[98:99]
	v_mul_f64 v[98:99], v[74:75], s[42:43]
	v_add_f64 v[100:101], v[100:101], v[108:109]
	v_add_f64 v[94:95], v[94:95], v[104:105]
	v_fma_f64 v[102:103], v[88:89], s[2:3], -v[98:99]
	v_fma_f64 v[98:99], v[88:89], s[2:3], v[98:99]
	v_mul_f64 v[104:105], v[72:73], s[42:43]
	v_add_f64 v[102:103], v[102:103], v[110:111]
	v_add_f64 v[98:99], v[98:99], v[106:107]
	v_mul_f64 v[106:107], v[74:75], s[28:29]
	v_fma_f64 v[108:109], v[90:91], s[2:3], v[104:105]
	v_fma_f64 v[104:105], v[90:91], s[2:3], -v[104:105]
	v_fma_f64 v[110:111], v[88:89], s[16:17], -v[106:107]
	v_fma_f64 v[106:107], v[88:89], s[16:17], v[106:107]
	v_add_f64 v[104:105], v[104:105], v[112:113]
	v_mul_f64 v[112:113], v[72:73], s[28:29]
	v_add_f64 v[108:109], v[108:109], v[114:115]
	v_add_f64 v[110:111], v[110:111], v[118:119]
	;; [unrolled: 1-line block ×3, first 2 shown]
	v_mul_f64 v[116:117], v[74:75], s[46:47]
	v_fma_f64 v[114:115], v[90:91], s[16:17], v[112:113]
	v_fma_f64 v[112:113], v[90:91], s[16:17], -v[112:113]
	v_mul_f64 v[74:75], v[74:75], s[48:49]
	v_fma_f64 v[118:119], v[88:89], s[34:35], -v[116:117]
	v_fma_f64 v[116:117], v[88:89], s[34:35], v[116:117]
	v_add_f64 v[112:113], v[112:113], v[120:121]
	v_mul_f64 v[120:121], v[72:73], s[46:47]
	v_mul_f64 v[72:73], v[72:73], s[48:49]
	v_add_f64 v[114:115], v[114:115], v[122:123]
	v_add_f64 v[118:119], v[118:119], v[126:127]
	;; [unrolled: 1-line block ×3, first 2 shown]
	v_fma_f64 v[124:125], v[88:89], s[12:13], -v[74:75]
	v_fma_f64 v[74:75], v[88:89], s[12:13], v[74:75]
	v_fma_f64 v[126:127], v[90:91], s[12:13], v[72:73]
	v_fma_f64 v[72:73], v[90:91], s[12:13], -v[72:73]
	v_fma_f64 v[122:123], v[90:91], s[34:35], v[120:121]
	v_fma_f64 v[120:121], v[90:91], s[34:35], -v[120:121]
	v_add_f64 v[124:125], v[124:125], v[134:135]
	v_add_f64 v[74:75], v[74:75], v[82:83]
	;; [unrolled: 1-line block ×3, first 2 shown]
	v_add_f64 v[66:67], v[66:67], -v[70:71]
	v_add_f64 v[72:73], v[72:73], v[80:81]
	v_add_f64 v[80:81], v[64:65], v[68:69]
	v_add_f64 v[64:65], v[64:65], -v[68:69]
	v_add_f64 v[122:123], v[122:123], v[132:133]
	v_add_f64 v[120:121], v[120:121], v[130:131]
	;; [unrolled: 1-line block ×4, first 2 shown]
	v_mul_f64 v[68:69], v[66:67], s[30:31]
	v_add_f64 v[134:135], v[24:25], -v[28:29]
	v_mul_f64 v[90:91], v[64:65], s[40:41]
	v_fma_f64 v[70:71], v[80:81], s[24:25], -v[68:69]
	v_fma_f64 v[68:69], v[80:81], s[24:25], v[68:69]
	v_add_f64 v[70:71], v[70:71], v[78:79]
	v_mul_f64 v[78:79], v[64:65], s[30:31]
	v_add_f64 v[68:69], v[68:69], v[76:77]
	v_fma_f64 v[88:89], v[82:83], s[24:25], v[78:79]
	v_fma_f64 v[76:77], v[82:83], s[24:25], -v[78:79]
	v_mul_f64 v[78:79], v[66:67], s[40:41]
	v_add_f64 v[88:89], v[88:89], v[96:97]
	v_add_f64 v[76:77], v[76:77], v[84:85]
	v_fma_f64 v[84:85], v[80:81], s[16:17], -v[78:79]
	v_fma_f64 v[78:79], v[80:81], s[16:17], v[78:79]
	v_mul_f64 v[96:97], v[64:65], s[22:23]
	v_add_f64 v[84:85], v[84:85], v[92:93]
	v_fma_f64 v[92:93], v[82:83], s[16:17], v[90:91]
	v_add_f64 v[78:79], v[78:79], v[86:87]
	v_fma_f64 v[86:87], v[82:83], s[16:17], -v[90:91]
	v_mul_f64 v[90:91], v[66:67], s[22:23]
	v_add_f64 v[92:93], v[92:93], v[100:101]
	v_fma_f64 v[100:101], v[82:83], s[12:13], v[96:97]
	v_fma_f64 v[96:97], v[82:83], s[12:13], -v[96:97]
	v_add_f64 v[86:87], v[86:87], v[94:95]
	v_fma_f64 v[94:95], v[80:81], s[12:13], -v[90:91]
	v_fma_f64 v[90:91], v[80:81], s[12:13], v[90:91]
	v_add_f64 v[100:101], v[100:101], v[108:109]
	v_add_f64 v[96:97], v[96:97], v[104:105]
	v_mul_f64 v[104:105], v[64:65], s[46:47]
	v_add_f64 v[94:95], v[94:95], v[102:103]
	v_add_f64 v[90:91], v[90:91], v[98:99]
	v_mul_f64 v[98:99], v[66:67], s[46:47]
	v_fma_f64 v[108:109], v[82:83], s[34:35], v[104:105]
	v_fma_f64 v[104:105], v[82:83], s[34:35], -v[104:105]
	v_fma_f64 v[102:103], v[80:81], s[34:35], -v[98:99]
	v_fma_f64 v[98:99], v[80:81], s[34:35], v[98:99]
	v_add_f64 v[108:109], v[108:109], v[114:115]
	v_add_f64 v[104:105], v[104:105], v[112:113]
	v_mul_f64 v[112:113], v[64:65], s[42:43]
	v_add_f64 v[102:103], v[102:103], v[110:111]
	v_add_f64 v[98:99], v[98:99], v[106:107]
	v_mul_f64 v[106:107], v[66:67], s[42:43]
	v_mul_f64 v[66:67], v[66:67], s[26:27]
	;; [unrolled: 1-line block ×3, first 2 shown]
	v_fma_f64 v[114:115], v[82:83], s[2:3], v[112:113]
	v_fma_f64 v[112:113], v[82:83], s[2:3], -v[112:113]
	v_fma_f64 v[110:111], v[80:81], s[2:3], -v[106:107]
	v_fma_f64 v[106:107], v[80:81], s[2:3], v[106:107]
	v_add_f64 v[114:115], v[114:115], v[122:123]
	v_add_f64 v[122:123], v[58:59], -v[62:63]
	v_add_f64 v[112:113], v[112:113], v[120:121]
	v_add_f64 v[120:121], v[56:57], -v[60:61]
	v_add_f64 v[106:107], v[106:107], v[116:117]
	v_fma_f64 v[116:117], v[80:81], s[18:19], -v[66:67]
	v_fma_f64 v[66:67], v[80:81], s[18:19], v[66:67]
	v_add_f64 v[80:81], v[56:57], v[60:61]
	v_add_f64 v[110:111], v[110:111], v[118:119]
	v_mul_f64 v[56:57], v[122:123], s[36:37]
	v_fma_f64 v[118:119], v[82:83], s[18:19], v[64:65]
	v_fma_f64 v[64:65], v[82:83], s[18:19], -v[64:65]
	v_add_f64 v[82:83], v[58:59], v[62:63]
	v_add_f64 v[116:117], v[116:117], v[124:125]
	;; [unrolled: 1-line block ×4, first 2 shown]
	v_fma_f64 v[58:59], v[80:81], s[34:35], -v[56:57]
	v_fma_f64 v[56:57], v[80:81], s[34:35], v[56:57]
	v_add_f64 v[72:73], v[64:65], v[72:73]
	v_mul_f64 v[64:65], v[122:123], s[42:43]
	v_add_f64 v[118:119], v[118:119], v[126:127]
	v_add_f64 v[126:127], v[22:23], -v[34:35]
	v_add_f64 v[60:61], v[58:59], v[70:71]
	v_mul_f64 v[58:59], v[120:121], s[36:37]
	v_add_f64 v[56:57], v[56:57], v[68:69]
	v_fma_f64 v[66:67], v[80:81], s[2:3], -v[64:65]
	v_fma_f64 v[64:65], v[80:81], s[2:3], v[64:65]
	v_fma_f64 v[62:63], v[82:83], s[34:35], v[58:59]
	v_fma_f64 v[58:59], v[82:83], s[34:35], -v[58:59]
	v_add_f64 v[68:69], v[66:67], v[84:85]
	v_add_f64 v[64:65], v[64:65], v[78:79]
	v_mul_f64 v[66:67], v[120:121], s[42:43]
	v_add_f64 v[62:63], v[62:63], v[88:89]
	v_add_f64 v[58:59], v[58:59], v[76:77]
	v_mul_f64 v[76:77], v[122:123], s[30:31]
	v_add_f64 v[88:89], v[8:9], -v[44:45]
	v_fma_f64 v[70:71], v[82:83], s[2:3], v[66:67]
	v_fma_f64 v[66:67], v[82:83], s[2:3], -v[66:67]
	v_fma_f64 v[78:79], v[80:81], s[24:25], -v[76:77]
	v_fma_f64 v[76:77], v[80:81], s[24:25], v[76:77]
	v_add_f64 v[70:71], v[70:71], v[92:93]
	v_add_f64 v[92:93], v[10:11], -v[46:47]
	v_add_f64 v[66:67], v[66:67], v[86:87]
	v_mul_f64 v[86:87], v[88:89], s[22:23]
	v_add_f64 v[144:145], v[78:79], v[94:95]
	v_mul_f64 v[78:79], v[120:121], s[30:31]
	v_add_f64 v[148:149], v[76:77], v[90:91]
	v_add_f64 v[90:91], v[6:7], v[50:51]
	v_fma_f64 v[76:77], v[82:83], s[24:25], -v[78:79]
	v_fma_f64 v[84:85], v[82:83], s[24:25], v[78:79]
	v_add_f64 v[150:151], v[76:77], v[96:97]
	v_mul_f64 v[76:77], v[122:123], s[48:49]
	v_add_f64 v[146:147], v[84:85], v[100:101]
	v_add_f64 v[100:101], v[12:13], -v[40:41]
	v_fma_f64 v[78:79], v[80:81], s[12:13], -v[76:77]
	v_fma_f64 v[76:77], v[80:81], s[12:13], v[76:77]
	v_add_f64 v[159:160], v[78:79], v[102:103]
	v_mul_f64 v[78:79], v[120:121], s[48:49]
	v_add_f64 v[163:164], v[76:77], v[98:99]
	v_add_f64 v[102:103], v[14:15], -v[42:43]
	v_mul_f64 v[98:99], v[100:101], s[28:29]
	v_fma_f64 v[76:77], v[82:83], s[12:13], -v[78:79]
	v_fma_f64 v[84:85], v[82:83], s[12:13], v[78:79]
	v_add_f64 v[165:166], v[76:77], v[104:105]
	v_mul_f64 v[76:77], v[122:123], s[26:27]
	v_add_f64 v[161:162], v[84:85], v[108:109]
	v_add_f64 v[108:109], v[6:7], -v[50:51]
	v_fma_f64 v[78:79], v[80:81], s[18:19], -v[76:77]
	v_fma_f64 v[76:77], v[80:81], s[18:19], v[76:77]
	v_add_f64 v[167:168], v[78:79], v[110:111]
	v_mul_f64 v[78:79], v[120:121], s[26:27]
	v_add_f64 v[176:177], v[76:77], v[106:107]
	v_fma_f64 v[76:77], v[82:83], s[18:19], -v[78:79]
	v_fma_f64 v[84:85], v[82:83], s[18:19], v[78:79]
	v_add_f64 v[178:179], v[76:77], v[112:113]
	v_mul_f64 v[76:77], v[122:123], s[40:41]
	v_add_f64 v[169:170], v[84:85], v[114:115]
	v_add_f64 v[112:113], v[16:17], -v[36:37]
	v_add_f64 v[122:123], v[20:21], -v[32:33]
	v_fma_f64 v[78:79], v[80:81], s[16:17], -v[76:77]
	v_fma_f64 v[76:77], v[80:81], s[16:17], v[76:77]
	v_add_f64 v[80:81], v[4:5], -v[48:49]
	v_mul_f64 v[110:111], v[112:113], s[26:27]
	v_add_f64 v[180:181], v[78:79], v[116:117]
	v_mul_f64 v[78:79], v[120:121], s[40:41]
	v_add_f64 v[184:185], v[76:77], v[74:75]
	v_add_f64 v[116:117], v[18:19], -v[38:39]
	v_mul_f64 v[120:121], v[122:123], s[30:31]
	v_fma_f64 v[74:75], v[82:83], s[16:17], -v[78:79]
	v_fma_f64 v[84:85], v[82:83], s[16:17], v[78:79]
	v_mul_f64 v[78:79], v[80:81], s[20:21]
	v_mul_f64 v[82:83], v[92:93], s[22:23]
	v_add_f64 v[186:187], v[74:75], v[72:73]
	v_add_f64 v[72:73], v[4:5], v[48:49]
	v_mul_f64 v[74:75], v[108:109], s[20:21]
	v_add_f64 v[182:183], v[84:85], v[118:119]
	v_fma_f64 v[76:77], v[72:73], s[2:3], v[74:75]
	v_add_f64 v[84:85], v[0:1], v[76:77]
	v_fma_f64 v[76:77], v[90:91], s[2:3], -v[78:79]
	v_add_f64 v[94:95], v[2:3], v[76:77]
	v_add_f64 v[76:77], v[8:9], v[44:45]
	v_fma_f64 v[96:97], v[76:77], s[12:13], v[82:83]
	v_add_f64 v[96:97], v[96:97], v[84:85]
	v_fma_f64 v[84:85], v[124:125], s[12:13], -v[86:87]
	v_add_f64 v[104:105], v[84:85], v[94:95]
	v_add_f64 v[84:85], v[12:13], v[40:41]
	v_mul_f64 v[94:95], v[102:103], s[28:29]
	v_fma_f64 v[106:107], v[84:85], s[16:17], v[94:95]
	v_add_f64 v[106:107], v[106:107], v[96:97]
	v_fma_f64 v[96:97], v[136:137], s[16:17], -v[98:99]
	v_add_f64 v[114:115], v[96:97], v[104:105]
	v_add_f64 v[96:97], v[16:17], v[36:37]
	v_mul_f64 v[104:105], v[116:117], s[26:27]
	v_fma_f64 v[118:119], v[96:97], s[18:19], v[104:105]
	v_add_f64 v[130:131], v[118:119], v[106:107]
	v_fma_f64 v[106:107], v[140:141], s[18:19], -v[110:111]
	v_mul_f64 v[118:119], v[126:127], s[30:31]
	v_add_f64 v[114:115], v[106:107], v[114:115]
	v_add_f64 v[106:107], v[20:21], v[32:33]
	v_fma_f64 v[132:133], v[106:107], s[24:25], v[118:119]
	v_add_f64 v[152:153], v[132:133], v[130:131]
	v_fma_f64 v[130:131], v[142:143], s[24:25], -v[120:121]
	v_mul_f64 v[132:133], v[134:135], s[36:37]
	v_add_f64 v[156:157], v[130:131], v[114:115]
	v_add_f64 v[114:115], v[24:25], v[28:29]
	v_mul_f64 v[130:131], v[138:139], s[36:37]
	v_fma_f64 v[171:172], v[114:115], s[34:35], v[130:131]
	v_add_f64 v[195:196], v[171:172], v[152:153]
	v_fma_f64 v[152:153], v[154:155], s[34:35], -v[132:133]
	v_add_f64 v[197:198], v[152:153], v[156:157]
	v_mul_lo_u16_e32 v152, 13, v173
	v_lshl_add_u32 v175, v152, 4, v194
	ds_write_b128 v175, v[52:55]
	ds_write_b128 v175, v[60:63] offset:16
	ds_write_b128 v175, v[68:71] offset:32
	;; [unrolled: 1-line block ×12, first 2 shown]
	v_mul_u32_u24_e32 v52, 13, v158
	buffer_store_dword v52, off, s[52:55], 0 offset:824 ; 4-byte Folded Spill
	s_and_saveexec_b64 s[50:51], vcc
	s_cbranch_execz .LBB0_7
; %bb.6:
	v_mul_f64 v[52:53], v[90:91], s[34:35]
	v_mul_f64 v[58:59], v[108:109], s[36:37]
	;; [unrolled: 1-line block ×8, first 2 shown]
	v_fma_f64 v[161:162], v[80:81], s[46:47], v[52:53]
	v_fma_f64 v[171:172], v[72:73], s[34:35], v[58:59]
	;; [unrolled: 1-line block ×4, first 2 shown]
	v_fma_f64 v[58:59], v[72:73], s[34:35], -v[58:59]
	v_fma_f64 v[182:183], v[76:77], s[2:3], v[169:170]
	v_fma_f64 v[156:157], v[88:89], s[42:43], v[156:157]
	;; [unrolled: 1-line block ×3, first 2 shown]
	v_add_f64 v[161:162], v[2:3], v[161:162]
	v_add_f64 v[171:172], v[0:1], v[171:172]
	;; [unrolled: 1-line block ×3, first 2 shown]
	v_fma_f64 v[169:170], v[76:77], s[2:3], -v[169:170]
	v_add_f64 v[58:59], v[0:1], v[58:59]
	v_fma_f64 v[184:185], v[84:85], s[24:25], v[180:181]
	v_fma_f64 v[163:164], v[100:101], s[30:31], v[163:164]
	;; [unrolled: 1-line block ×3, first 2 shown]
	v_add_f64 v[161:162], v[176:177], v[161:162]
	v_mul_f64 v[176:177], v[116:117], s[48:49]
	v_add_f64 v[171:172], v[182:183], v[171:172]
	v_add_f64 v[52:53], v[156:157], v[52:53]
	v_add_f64 v[58:59], v[169:170], v[58:59]
	v_fma_f64 v[56:57], v[112:113], s[48:49], v[56:57]
	v_mul_f64 v[159:160], v[154:155], s[16:17]
	v_fma_f64 v[165:166], v[122:123], s[44:45], v[54:55]
	v_add_f64 v[156:157], v[178:179], v[161:162]
	v_mul_f64 v[161:162], v[126:127], s[26:27]
	v_fma_f64 v[178:179], v[84:85], s[24:25], -v[180:181]
	v_fma_f64 v[169:170], v[96:97], s[12:13], v[176:177]
	v_add_f64 v[171:172], v[184:185], v[171:172]
	v_add_f64 v[52:53], v[163:164], v[52:53]
	v_mul_f64 v[163:164], v[138:139], s[40:41]
	v_fma_f64 v[54:55], v[122:123], s[26:27], v[54:55]
	v_add_f64 v[156:157], v[167:168], v[156:157]
	v_fma_f64 v[167:168], v[96:97], s[12:13], -v[176:177]
	v_add_f64 v[58:59], v[178:179], v[58:59]
	v_fma_f64 v[176:177], v[106:107], s[18:19], v[161:162]
	v_add_f64 v[169:170], v[169:170], v[171:172]
	v_add_f64 v[52:53], v[56:57], v[52:53]
	v_fma_f64 v[56:57], v[134:135], s[28:29], v[159:160]
	v_fma_f64 v[161:162], v[106:107], s[18:19], -v[161:162]
	v_add_f64 v[165:166], v[165:166], v[156:157]
	v_fma_f64 v[159:160], v[134:135], s[40:41], v[159:160]
	v_add_f64 v[58:59], v[167:168], v[58:59]
	v_fma_f64 v[167:168], v[114:115], s[16:17], v[163:164]
	v_add_f64 v[169:170], v[176:177], v[169:170]
	v_add_f64 v[171:172], v[54:55], v[52:53]
	v_mul_f64 v[176:177], v[90:91], s[24:25]
	v_fma_f64 v[163:164], v[114:115], s[16:17], -v[163:164]
	v_add_f64 v[54:55], v[56:57], v[165:166]
	v_mul_f64 v[165:166], v[124:125], s[16:17]
	v_add_f64 v[161:162], v[161:162], v[58:59]
	v_mul_f64 v[178:179], v[92:93], s[40:41]
	v_add_f64 v[52:53], v[167:168], v[169:170]
	v_add_f64 v[58:59], v[159:160], v[171:172]
	v_mul_f64 v[159:160], v[108:109], s[30:31]
	v_fma_f64 v[167:168], v[80:81], s[38:39], v[176:177]
	v_fma_f64 v[176:177], v[80:81], s[30:31], v[176:177]
	;; [unrolled: 1-line block ×3, first 2 shown]
	v_add_f64 v[56:57], v[163:164], v[161:162]
	v_mul_f64 v[163:164], v[136:137], s[12:13]
	v_mul_f64 v[184:185], v[140:141], s[34:35]
	;; [unrolled: 1-line block ×3, first 2 shown]
	v_fma_f64 v[180:181], v[72:73], s[24:25], v[159:160]
	v_add_f64 v[167:168], v[2:3], v[167:168]
	v_fma_f64 v[190:191], v[76:77], s[16:17], v[178:179]
	v_fma_f64 v[165:166], v[88:89], s[40:41], v[165:166]
	v_fma_f64 v[159:160], v[72:73], s[24:25], -v[159:160]
	v_fma_f64 v[186:187], v[100:101], s[48:49], v[163:164]
	v_mov_b32_e32 v216, v198
	v_mul_f64 v[192:193], v[116:117], s[46:47]
	v_add_f64 v[180:181], v[0:1], v[180:181]
	v_add_f64 v[167:168], v[171:172], v[167:168]
	;; [unrolled: 1-line block ×3, first 2 shown]
	v_fma_f64 v[176:177], v[112:113], s[36:37], v[184:185]
	v_mov_b32_e32 v212, v194
	v_mov_b32_e32 v215, v197
	;; [unrolled: 1-line block ×4, first 2 shown]
	v_fma_f64 v[194:195], v[84:85], s[12:13], v[188:189]
	v_add_f64 v[180:181], v[190:191], v[180:181]
	v_add_f64 v[167:168], v[186:187], v[167:168]
	v_fma_f64 v[163:164], v[100:101], s[22:23], v[163:164]
	v_add_f64 v[165:166], v[165:166], v[171:172]
	v_fma_f64 v[178:179], v[76:77], s[16:17], -v[178:179]
	v_add_f64 v[159:160], v[0:1], v[159:160]
	v_mul_f64 v[169:170], v[142:143], s[2:3]
	v_mul_f64 v[171:172], v[126:127], s[42:43]
	v_fma_f64 v[186:187], v[96:97], s[34:35], v[192:193]
	v_add_f64 v[180:181], v[194:195], v[180:181]
	v_add_f64 v[167:168], v[176:177], v[167:168]
	v_fma_f64 v[176:177], v[112:113], s[46:47], v[184:185]
	v_add_f64 v[163:164], v[163:164], v[165:166]
	v_fma_f64 v[165:166], v[84:85], s[12:13], -v[188:189]
	v_add_f64 v[159:160], v[178:179], v[159:160]
	v_mul_f64 v[161:162], v[154:155], s[18:19]
	v_fma_f64 v[182:183], v[122:123], s[20:21], v[169:170]
	v_mul_f64 v[184:185], v[138:139], s[26:27]
	v_fma_f64 v[178:179], v[106:107], s[2:3], v[171:172]
	v_add_f64 v[180:181], v[186:187], v[180:181]
	v_fma_f64 v[169:170], v[122:123], s[42:43], v[169:170]
	v_add_f64 v[163:164], v[176:177], v[163:164]
	v_fma_f64 v[176:177], v[96:97], s[34:35], -v[192:193]
	v_add_f64 v[159:160], v[165:166], v[159:160]
	v_fma_f64 v[186:187], v[134:135], s[44:45], v[161:162]
	v_add_f64 v[167:168], v[182:183], v[167:168]
	v_fma_f64 v[165:166], v[114:115], s[18:19], v[184:185]
	;; [unrolled: 2-line block ×3, first 2 shown]
	v_mul_f64 v[182:183], v[90:91], s[18:19]
	v_add_f64 v[163:164], v[169:170], v[163:164]
	v_add_f64 v[169:170], v[176:177], v[159:160]
	v_mul_f64 v[176:177], v[108:109], s[26:27]
	v_add_f64 v[161:162], v[186:187], v[167:168]
	v_fma_f64 v[167:168], v[106:107], s[2:3], -v[171:172]
	v_mul_f64 v[171:172], v[124:125], s[24:25]
	v_add_f64 v[159:160], v[165:166], v[178:179]
	v_fma_f64 v[178:179], v[80:81], s[44:45], v[182:183]
	v_add_f64 v[165:166], v[180:181], v[163:164]
	v_fma_f64 v[163:164], v[114:115], s[18:19], -v[184:185]
	v_mul_f64 v[184:185], v[92:93], s[38:39]
	v_fma_f64 v[186:187], v[72:73], s[18:19], v[176:177]
	v_mul_f64 v[180:181], v[136:137], s[2:3]
	v_add_f64 v[167:168], v[167:168], v[169:170]
	v_fma_f64 v[169:170], v[88:89], s[30:31], v[171:172]
	v_add_f64 v[178:179], v[2:3], v[178:179]
	v_fma_f64 v[182:183], v[80:81], s[26:27], v[182:183]
	v_mul_f64 v[194:195], v[102:103], s[42:43]
	v_fma_f64 v[196:197], v[76:77], s[24:25], v[184:185]
	v_add_f64 v[186:187], v[0:1], v[186:187]
	v_mul_f64 v[190:191], v[140:141], s[16:17]
	v_fma_f64 v[192:193], v[100:101], s[20:21], v[180:181]
	v_fma_f64 v[171:172], v[88:89], s[38:39], v[171:172]
	v_add_f64 v[169:170], v[169:170], v[178:179]
	v_add_f64 v[182:183], v[2:3], v[182:183]
	v_mul_f64 v[200:201], v[116:117], s[28:29]
	v_fma_f64 v[202:203], v[84:85], s[2:3], v[194:195]
	v_add_f64 v[186:187], v[196:197], v[186:187]
	v_mul_f64 v[178:179], v[142:143], s[34:35]
	v_fma_f64 v[198:199], v[112:113], s[40:41], v[190:191]
	v_fma_f64 v[180:181], v[100:101], s[42:43], v[180:181]
	v_add_f64 v[169:170], v[192:193], v[169:170]
	v_fma_f64 v[176:177], v[72:73], s[18:19], -v[176:177]
	v_add_f64 v[171:172], v[171:172], v[182:183]
	v_mul_f64 v[182:183], v[126:127], s[46:47]
	v_fma_f64 v[196:197], v[96:97], s[16:17], v[200:201]
	v_add_f64 v[186:187], v[202:203], v[186:187]
	v_fma_f64 v[192:193], v[122:123], s[36:37], v[178:179]
	v_fma_f64 v[190:191], v[112:113], s[28:29], v[190:191]
	v_add_f64 v[169:170], v[198:199], v[169:170]
	v_fma_f64 v[184:185], v[76:77], s[24:25], -v[184:185]
	v_add_f64 v[176:177], v[0:1], v[176:177]
	v_add_f64 v[171:172], v[180:181], v[171:172]
	v_mul_f64 v[180:181], v[138:139], s[48:49]
	v_fma_f64 v[198:199], v[106:107], s[34:35], v[182:183]
	v_add_f64 v[186:187], v[196:197], v[186:187]
	v_mul_f64 v[188:189], v[154:155], s[12:13]
	v_fma_f64 v[178:179], v[122:123], s[46:47], v[178:179]
	v_fma_f64 v[194:195], v[84:85], s[2:3], -v[194:195]
	v_add_f64 v[176:177], v[184:185], v[176:177]
	v_add_f64 v[171:172], v[190:191], v[171:172]
	;; [unrolled: 1-line block ×3, first 2 shown]
	v_fma_f64 v[184:185], v[114:115], s[12:13], v[180:181]
	v_add_f64 v[186:187], v[198:199], v[186:187]
	v_mul_f64 v[192:193], v[90:91], s[16:17]
	v_fma_f64 v[196:197], v[134:135], s[22:23], v[188:189]
	v_fma_f64 v[188:189], v[134:135], s[48:49], v[188:189]
	v_fma_f64 v[190:191], v[96:97], s[16:17], -v[200:201]
	v_add_f64 v[176:177], v[194:195], v[176:177]
	v_add_f64 v[171:172], v[178:179], v[171:172]
	;; [unrolled: 1-line block ×4, first 2 shown]
	v_mul_f64 v[184:185], v[124:125], s[34:35]
	v_fma_f64 v[186:187], v[80:81], s[40:41], v[192:193]
	v_fma_f64 v[192:193], v[80:81], s[28:29], v[192:193]
	v_fma_f64 v[182:183], v[106:107], s[34:35], -v[182:183]
	v_add_f64 v[176:177], v[190:191], v[176:177]
	v_add_f64 v[178:179], v[188:189], v[171:172]
	v_mul_f64 v[188:189], v[136:137], s[18:19]
	v_add_f64 v[6:7], v[2:3], v[6:7]
	v_fma_f64 v[190:191], v[88:89], s[46:47], v[184:185]
	v_fma_f64 v[184:185], v[88:89], s[36:37], v[184:185]
	v_add_f64 v[192:193], v[2:3], v[192:193]
	v_add_f64 v[4:5], v[0:1], v[4:5]
	;; [unrolled: 1-line block ×4, first 2 shown]
	v_mul_f64 v[182:183], v[140:141], s[2:3]
	v_fma_f64 v[198:199], v[100:101], s[26:27], v[188:189]
	v_fma_f64 v[188:189], v[100:101], s[44:45], v[188:189]
	v_add_f64 v[6:7], v[6:7], v[10:11]
	v_add_f64 v[184:185], v[184:185], v[192:193]
	;; [unrolled: 1-line block ×3, first 2 shown]
	v_mul_f64 v[194:195], v[108:109], s[28:29]
	v_add_f64 v[186:187], v[190:191], v[186:187]
	v_mul_f64 v[190:191], v[142:143], s[12:13]
	v_fma_f64 v[204:205], v[112:113], s[20:21], v[182:183]
	v_fma_f64 v[182:183], v[112:113], s[42:43], v[182:183]
	v_add_f64 v[6:7], v[6:7], v[14:15]
	v_add_f64 v[184:185], v[188:189], v[184:185]
	;; [unrolled: 1-line block ×3, first 2 shown]
	v_mul_f64 v[171:172], v[154:155], s[24:25]
	v_mul_f64 v[200:201], v[92:93], s[36:37]
	v_fma_f64 v[202:203], v[72:73], s[16:17], v[194:195]
	v_add_f64 v[186:187], v[198:199], v[186:187]
	v_fma_f64 v[198:199], v[122:123], s[48:49], v[190:191]
	v_fma_f64 v[194:195], v[72:73], s[16:17], -v[194:195]
	v_fma_f64 v[190:191], v[122:123], s[22:23], v[190:191]
	v_add_f64 v[184:185], v[182:183], v[184:185]
	v_add_f64 v[6:7], v[6:7], v[18:19]
	;; [unrolled: 1-line block ×4, first 2 shown]
	v_fma_f64 v[196:197], v[134:135], s[38:39], v[171:172]
	v_mul_f64 v[206:207], v[102:103], s[44:45]
	v_fma_f64 v[208:209], v[76:77], s[34:35], v[200:201]
	v_add_f64 v[202:203], v[0:1], v[202:203]
	v_add_f64 v[186:187], v[204:205], v[186:187]
	v_fma_f64 v[200:201], v[76:77], s[34:35], -v[200:201]
	v_add_f64 v[194:195], v[0:1], v[194:195]
	v_fma_f64 v[171:172], v[134:135], s[30:31], v[171:172]
	v_add_f64 v[184:185], v[190:191], v[184:185]
	v_mul_f64 v[190:191], v[90:91], s[12:13]
	v_add_f64 v[6:7], v[6:7], v[22:23]
	v_add_f64 v[4:5], v[4:5], v[20:21]
	v_mul_f64 v[148:149], v[72:73], s[2:3]
	v_mul_f64 v[152:153], v[90:91], s[2:3]
	v_mul_f64 v[150:151], v[124:125], s[12:13]
	v_mul_f64 v[210:211], v[116:117], s[42:43]
	v_fma_f64 v[192:193], v[84:85], s[18:19], v[206:207]
	v_add_f64 v[202:203], v[208:209], v[202:203]
	v_add_f64 v[186:187], v[198:199], v[186:187]
	;; [unrolled: 1-line block ×3, first 2 shown]
	v_mul_f64 v[200:201], v[138:139], s[30:31]
	v_add_f64 v[90:91], v[171:172], v[184:185]
	v_mul_f64 v[124:125], v[124:125], s[18:19]
	v_fma_f64 v[184:185], v[80:81], s[48:49], v[190:191]
	v_mul_f64 v[108:109], v[108:109], s[22:23]
	v_add_f64 v[6:7], v[6:7], v[26:27]
	v_add_f64 v[4:5], v[4:5], v[24:25]
	v_mul_f64 v[146:147], v[76:77], s[12:13]
	v_fma_f64 v[80:81], v[80:81], s[22:23], v[190:191]
	v_mul_f64 v[92:93], v[92:93], s[26:27]
	v_add_f64 v[78:79], v[78:79], v[152:153]
	v_add_f64 v[24:25], v[148:149], -v[74:75]
	v_mul_f64 v[70:71], v[136:137], s[16:17]
	v_fma_f64 v[180:181], v[114:115], s[12:13], -v[180:181]
	v_fma_f64 v[188:189], v[96:97], s[2:3], v[210:211]
	v_add_f64 v[192:193], v[192:193], v[202:203]
	v_fma_f64 v[198:199], v[84:85], s[18:19], -v[206:207]
	v_add_f64 v[182:183], v[196:197], v[186:187]
	v_fma_f64 v[186:187], v[114:115], s[24:25], v[200:201]
	v_fma_f64 v[171:172], v[114:115], s[24:25], -v[200:201]
	v_mul_f64 v[136:137], v[136:137], s[34:35]
	v_fma_f64 v[196:197], v[88:89], s[44:45], v[124:125]
	v_add_f64 v[184:185], v[2:3], v[184:185]
	v_fma_f64 v[200:201], v[72:73], s[12:13], v[108:109]
	v_fma_f64 v[26:27], v[72:73], s[12:13], -v[108:109]
	v_add_f64 v[6:7], v[6:7], v[30:31]
	v_add_f64 v[4:5], v[4:5], v[28:29]
	v_mul_f64 v[68:69], v[84:85], s[16:17]
	v_add_f64 v[80:81], v[2:3], v[80:81]
	v_fma_f64 v[10:11], v[76:77], s[18:19], v[92:93]
	v_fma_f64 v[72:73], v[76:77], s[18:19], -v[92:93]
	v_add_f64 v[74:75], v[86:87], v[150:151]
	v_add_f64 v[2:3], v[2:3], v[78:79]
	v_add_f64 v[76:77], v[146:147], -v[82:83]
	v_add_f64 v[24:25], v[0:1], v[24:25]
	v_mul_f64 v[64:65], v[140:141], s[18:19]
	v_mul_f64 v[204:205], v[126:127], s[22:23]
	v_add_f64 v[188:189], v[188:189], v[192:193]
	v_add_f64 v[176:177], v[180:181], v[176:177]
	v_fma_f64 v[180:181], v[96:97], s[2:3], -v[210:211]
	v_add_f64 v[192:193], v[198:199], v[194:195]
	v_mul_f64 v[140:141], v[140:141], s[24:25]
	v_fma_f64 v[190:191], v[100:101], s[46:47], v[136:137]
	v_add_f64 v[184:185], v[196:197], v[184:185]
	v_fma_f64 v[88:89], v[88:89], s[26:27], v[124:125]
	v_mul_f64 v[8:9], v[102:103], s[36:37]
	v_add_f64 v[102:103], v[0:1], v[200:201]
	v_add_f64 v[0:1], v[0:1], v[26:27]
	;; [unrolled: 1-line block ×4, first 2 shown]
	v_mul_f64 v[62:63], v[96:97], s[18:19]
	v_add_f64 v[26:27], v[98:99], v[70:71]
	v_add_f64 v[2:3], v[74:75], v[2:3]
	v_add_f64 v[28:29], v[68:69], -v[94:95]
	v_add_f64 v[24:25], v[76:77], v[24:25]
	v_mul_f64 v[144:145], v[142:143], s[24:25]
	v_fma_f64 v[194:195], v[106:107], s[12:13], -v[204:205]
	v_add_f64 v[180:181], v[180:181], v[192:193]
	v_mul_f64 v[142:143], v[142:143], s[16:17]
	v_fma_f64 v[198:199], v[112:113], s[30:31], v[140:141]
	v_add_f64 v[124:125], v[190:191], v[184:185]
	v_fma_f64 v[100:101], v[100:101], s[36:37], v[136:137]
	v_add_f64 v[80:81], v[88:89], v[80:81]
	v_mul_f64 v[12:13], v[116:117], s[38:39]
	v_fma_f64 v[14:15], v[84:85], s[34:35], v[8:9]
	v_fma_f64 v[8:9], v[84:85], s[34:35], -v[8:9]
	v_add_f64 v[0:1], v[72:73], v[0:1]
	v_add_f64 v[10:11], v[10:11], v[102:103]
	;; [unrolled: 1-line block ×4, first 2 shown]
	v_mul_f64 v[60:61], v[106:107], s[24:25]
	v_mul_f64 v[16:17], v[126:127], s[40:41]
	v_add_f64 v[30:31], v[110:111], v[64:65]
	v_add_f64 v[2:3], v[26:27], v[2:3]
	v_add_f64 v[26:27], v[62:63], -v[104:105]
	v_add_f64 v[24:25], v[28:29], v[24:25]
	v_add_f64 v[180:181], v[194:195], v[180:181]
	v_fma_f64 v[194:195], v[122:123], s[28:29], v[142:143]
	v_add_f64 v[88:89], v[198:199], v[124:125]
	v_fma_f64 v[102:103], v[112:113], s[38:39], v[140:141]
	;; [unrolled: 2-line block ×3, first 2 shown]
	v_fma_f64 v[12:13], v[96:97], s[24:25], -v[12:13]
	v_add_f64 v[0:1], v[8:9], v[0:1]
	v_add_f64 v[10:11], v[14:15], v[10:11]
	;; [unrolled: 1-line block ×4, first 2 shown]
	v_mul_f64 v[66:67], v[114:115], s[34:35]
	v_mul_f64 v[156:157], v[154:155], s[34:35]
	v_fma_f64 v[22:23], v[106:107], s[16:17], v[16:17]
	v_fma_f64 v[8:9], v[106:107], s[16:17], -v[16:17]
	v_add_f64 v[16:17], v[120:121], v[144:145]
	v_add_f64 v[2:3], v[30:31], v[2:3]
	v_add_f64 v[28:29], v[60:61], -v[118:119]
	v_add_f64 v[24:25], v[26:27], v[24:25]
	v_mul_f64 v[154:155], v[154:155], s[2:3]
	v_add_f64 v[14:15], v[194:195], v[88:89]
	v_fma_f64 v[88:89], v[122:123], s[40:41], v[142:143]
	v_add_f64 v[80:81], v[102:103], v[80:81]
	v_mul_f64 v[20:21], v[138:139], s[42:43]
	v_add_f64 v[0:1], v[12:13], v[0:1]
	v_fma_f64 v[202:203], v[106:107], s[12:13], v[204:205]
	v_add_f64 v[10:11], v[18:19], v[10:11]
	v_add_f64 v[32:33], v[6:7], v[46:47]
	;; [unrolled: 1-line block ×5, first 2 shown]
	v_add_f64 v[30:31], v[66:67], -v[130:131]
	v_add_f64 v[24:25], v[28:29], v[24:25]
	v_fma_f64 v[18:19], v[134:135], s[42:43], v[154:155]
	v_add_f64 v[80:81], v[88:89], v[80:81]
	v_fma_f64 v[12:13], v[114:115], s[2:3], -v[20:21]
	v_add_f64 v[0:1], v[8:9], v[0:1]
	v_add_f64 v[188:189], v[202:203], v[188:189]
	v_fma_f64 v[192:193], v[134:135], s[20:21], v[154:155]
	v_fma_f64 v[20:21], v[114:115], s[2:3], v[20:21]
	v_add_f64 v[22:23], v[22:23], v[10:11]
	v_add_f64 v[10:11], v[32:33], v[50:51]
	;; [unrolled: 1-line block ×8, first 2 shown]
	v_mov_b32_e32 v195, v213
	v_mov_b32_e32 v194, v212
	v_mul_u32_u24_e32 v16, 13, v158
	v_mov_b32_e32 v196, v214
	v_mov_b32_e32 v197, v215
	;; [unrolled: 1-line block ×3, first 2 shown]
	v_lshl_add_u32 v16, v16, 4, v194
	v_add_f64 v[180:181], v[186:187], v[188:189]
	v_add_f64 v[14:15], v[192:193], v[14:15]
	;; [unrolled: 1-line block ×3, first 2 shown]
	ds_write_b128 v16, v[8:11]
	ds_write_b128 v16, v[4:7] offset:16
	ds_write_b128 v16, v[0:3] offset:32
	;; [unrolled: 1-line block ×12, first 2 shown]
.LBB0_7:
	s_or_b64 exec, exec, s[50:51]
	s_waitcnt vmcnt(0) lgkmcnt(0)
	s_barrier
	ds_read_b128 v[26:29], v174
	ds_read_b128 v[70:73], v174 offset:5200
	ds_read_b128 v[74:77], v174 offset:10400
	;; [unrolled: 1-line block ×9, first 2 shown]
	buffer_load_dword v178, off, s[52:55], 0 ; 4-byte Folded Reload
	v_mov_b32_e32 v0, s15
	v_addc_co_u32_e64 v176, s[0:1], 0, v0, s[0:1]
	s_movk_i32 s0, 0x82
	v_mov_b32_e32 v102, 6
	ds_read_b128 v[8:11], v174 offset:2080
	ds_read_b128 v[66:69], v174 offset:7280
	;; [unrolled: 1-line block ×15, first 2 shown]
	s_mov_b32 s16, 0x134454ff
	s_mov_b32 s17, 0x3fee6f0e
	;; [unrolled: 1-line block ×10, first 2 shown]
	s_movk_i32 s20, 0x1380
	s_waitcnt vmcnt(0)
	v_add_co_u32_e64 v153, s[0:1], s0, v178
	s_movk_i32 s0, 0xc3
	v_add_co_u32_e64 v152, s[0:1], s0, v178
	s_movk_i32 s0, 0x104
	;; [unrolled: 2-line block ×3, first 2 shown]
	v_mul_lo_u16_sdwa v24, v178, s0 dst_sel:DWORD dst_unused:UNUSED_PAD src0_sel:BYTE_0 src1_sel:DWORD
	v_lshrrev_b16_e32 v146, 10, v24
	v_mul_lo_u16_e32 v24, 13, v146
	v_sub_u16_e32 v147, v178, v24
	v_lshlrev_b32_sdwa v24, v102, v147 dst_sel:DWORD dst_unused:UNUSED_PAD src0_sel:DWORD src1_sel:BYTE_0
	global_load_dwordx4 v[199:202], v24, s[4:5] offset:48
	global_load_dwordx4 v[203:206], v24, s[4:5] offset:32
	;; [unrolled: 1-line block ×3, first 2 shown]
	global_load_dwordx4 v[211:214], v24, s[4:5]
	s_waitcnt vmcnt(0) lgkmcnt(14)
	v_mul_f64 v[24:25], v[72:73], v[213:214]
	v_fma_f64 v[138:139], v[70:71], v[211:212], -v[24:25]
	v_mul_f64 v[24:25], v[70:71], v[213:214]
	v_fma_f64 v[130:131], v[72:73], v[211:212], v[24:25]
	v_mul_f64 v[24:25], v[76:77], v[209:210]
	v_fma_f64 v[140:141], v[74:75], v[207:208], -v[24:25]
	v_mul_f64 v[24:25], v[74:75], v[209:210]
	v_fma_f64 v[132:133], v[76:77], v[207:208], v[24:25]
	;; [unrolled: 4-line block ×4, first 2 shown]
	v_mul_lo_u16_sdwa v24, v158, s0 dst_sel:DWORD dst_unused:UNUSED_PAD src0_sel:BYTE_0 src1_sel:DWORD
	v_lshrrev_b16_e32 v148, 10, v24
	v_mul_lo_u16_e32 v24, 13, v148
	v_sub_u16_e32 v149, v158, v24
	v_lshlrev_b32_sdwa v24, v102, v149 dst_sel:DWORD dst_unused:UNUSED_PAD src0_sel:DWORD src1_sel:BYTE_0
	global_load_dwordx4 v[215:218], v24, s[4:5] offset:48
	global_load_dwordx4 v[219:222], v24, s[4:5] offset:32
	;; [unrolled: 1-line block ×3, first 2 shown]
	global_load_dwordx4 v[227:230], v24, s[4:5]
	s_waitcnt vmcnt(0)
	v_mul_f64 v[24:25], v[88:89], v[229:230]
	v_fma_f64 v[120:121], v[86:87], v[227:228], -v[24:25]
	v_mul_f64 v[24:25], v[86:87], v[229:230]
	v_fma_f64 v[112:113], v[88:89], v[227:228], v[24:25]
	v_mul_f64 v[24:25], v[92:93], v[225:226]
	v_fma_f64 v[122:123], v[90:91], v[223:224], -v[24:25]
	v_mul_f64 v[24:25], v[90:91], v[225:226]
	v_fma_f64 v[114:115], v[92:93], v[223:224], v[24:25]
	;; [unrolled: 4-line block ×4, first 2 shown]
	v_mul_lo_u16_sdwa v24, v153, s0 dst_sel:DWORD dst_unused:UNUSED_PAD src0_sel:BYTE_0 src1_sel:DWORD
	v_lshrrev_b16_e32 v150, 10, v24
	v_mul_lo_u16_e32 v24, 13, v150
	v_sub_u16_e32 v151, v153, v24
	v_lshlrev_b32_sdwa v24, v102, v151 dst_sel:DWORD dst_unused:UNUSED_PAD src0_sel:DWORD src1_sel:BYTE_0
	global_load_dwordx4 v[231:234], v24, s[4:5] offset:48
	global_load_dwordx4 v[235:238], v24, s[4:5] offset:32
	;; [unrolled: 1-line block ×3, first 2 shown]
	global_load_dwordx4 v[243:246], v24, s[4:5]
	s_movk_i32 s0, 0x4ec5
	s_waitcnt vmcnt(0) lgkmcnt(13)
	v_mul_f64 v[24:25], v[68:69], v[245:246]
	v_fma_f64 v[78:79], v[66:67], v[243:244], -v[24:25]
	v_mul_f64 v[24:25], v[66:67], v[245:246]
	v_fma_f64 v[68:69], v[68:69], v[243:244], v[24:25]
	s_waitcnt lgkmcnt(12)
	v_mul_f64 v[24:25], v[64:65], v[241:242]
	v_fma_f64 v[82:83], v[62:63], v[239:240], -v[24:25]
	v_mul_f64 v[24:25], v[62:63], v[241:242]
	v_add_f64 v[62:63], v[78:79], -v[82:83]
	v_fma_f64 v[70:71], v[64:65], v[239:240], v[24:25]
	s_waitcnt lgkmcnt(11)
	v_mul_f64 v[24:25], v[60:61], v[237:238]
	v_fma_f64 v[64:65], v[58:59], v[235:236], -v[24:25]
	v_mul_f64 v[24:25], v[58:59], v[237:238]
	v_add_f64 v[58:59], v[116:117], -v[118:119]
	;; [unrolled: 6-line block ×3, first 2 shown]
	v_fma_f64 v[74:75], v[56:57], v[231:232], v[24:25]
	v_mul_u32_u24_sdwa v24, v152, s0 dst_sel:DWORD dst_unused:UNUSED_PAD src0_sel:WORD_0 src1_sel:DWORD
	v_lshrrev_b32_e32 v154, 18, v24
	v_mul_lo_u16_e32 v24, 13, v154
	v_sub_u16_e32 v155, v152, v24
	v_lshlrev_b16_e32 v24, 2, v155
	v_lshlrev_b32_e32 v24, 4, v24
	global_load_dwordx4 v[247:250], v24, s[4:5] offset:48
	global_load_dwordx4 v[251:254], v24, s[4:5] offset:32
	;; [unrolled: 1-line block ×3, first 2 shown]
	global_load_dwordx4 v[84:87], v24, s[4:5]
	v_add_f64 v[66:67], v[62:63], v[66:67]
	s_waitcnt vmcnt(0) lgkmcnt(8)
	v_mul_f64 v[24:25], v[52:53], v[86:87]
	v_fma_f64 v[76:77], v[50:51], v[84:85], -v[24:25]
	v_mul_f64 v[24:25], v[50:51], v[86:87]
	buffer_store_dword v84, off, s[52:55], 0 offset:236 ; 4-byte Folded Spill
	s_nop 0
	buffer_store_dword v85, off, s[52:55], 0 offset:240 ; 4-byte Folded Spill
	buffer_store_dword v86, off, s[52:55], 0 offset:244 ; 4-byte Folded Spill
	;; [unrolled: 1-line block ×3, first 2 shown]
	v_fma_f64 v[84:85], v[52:53], v[84:85], v[24:25]
	s_waitcnt lgkmcnt(7)
	v_mul_f64 v[24:25], v[48:49], v[56:57]
	v_fma_f64 v[80:81], v[46:47], v[54:55], -v[24:25]
	v_mul_f64 v[24:25], v[46:47], v[56:57]
	buffer_store_dword v54, off, s[52:55], 0 offset:220 ; 4-byte Folded Spill
	s_nop 0
	buffer_store_dword v55, off, s[52:55], 0 offset:224 ; 4-byte Folded Spill
	buffer_store_dword v56, off, s[52:55], 0 offset:228 ; 4-byte Folded Spill
	;; [unrolled: 1-line block ×3, first 2 shown]
	v_add_f64 v[56:57], v[122:123], -v[124:125]
	v_fma_f64 v[86:87], v[48:49], v[54:55], v[24:25]
	s_waitcnt lgkmcnt(6)
	v_mul_f64 v[24:25], v[44:45], v[253:254]
	v_add_f64 v[54:55], v[120:121], -v[126:127]
	v_fma_f64 v[100:101], v[42:43], v[251:252], -v[24:25]
	v_mul_f64 v[24:25], v[42:43], v[253:254]
	v_fma_f64 v[88:89], v[44:45], v[251:252], v[24:25]
	s_waitcnt lgkmcnt(5)
	v_mul_f64 v[24:25], v[40:41], v[249:250]
	v_fma_f64 v[102:103], v[38:39], v[247:248], -v[24:25]
	v_mul_f64 v[24:25], v[38:39], v[249:250]
	v_fma_f64 v[90:91], v[40:41], v[247:248], v[24:25]
	v_mul_u32_u24_sdwa v24, v177, s0 dst_sel:DWORD dst_unused:UNUSED_PAD src0_sel:WORD_0 src1_sel:DWORD
	v_lshrrev_b32_e32 v156, 18, v24
	v_mul_lo_u16_e32 v24, 13, v156
	v_sub_u16_e32 v157, v177, v24
	v_lshlrev_b16_e32 v24, 2, v157
	v_lshlrev_b32_e32 v24, 4, v24
	global_load_dwordx4 v[38:41], v24, s[4:5] offset:48
	global_load_dwordx4 v[42:45], v24, s[4:5] offset:32
	;; [unrolled: 1-line block ×3, first 2 shown]
	global_load_dwordx4 v[50:53], v24, s[4:5]
	s_waitcnt vmcnt(0) lgkmcnt(3)
	v_mul_f64 v[24:25], v[36:37], v[52:53]
	v_fma_f64 v[104:105], v[34:35], v[50:51], -v[24:25]
	v_mul_f64 v[24:25], v[34:35], v[52:53]
	buffer_store_dword v50, off, s[52:55], 0 offset:300 ; 4-byte Folded Spill
	s_nop 0
	buffer_store_dword v51, off, s[52:55], 0 offset:304 ; 4-byte Folded Spill
	buffer_store_dword v52, off, s[52:55], 0 offset:308 ; 4-byte Folded Spill
	;; [unrolled: 1-line block ×3, first 2 shown]
	v_add_f64 v[34:35], v[142:143], -v[144:145]
	v_add_f64 v[52:53], v[118:119], -v[116:117]
	v_fma_f64 v[92:93], v[36:37], v[50:51], v[24:25]
	s_waitcnt lgkmcnt(2)
	v_mul_f64 v[24:25], v[32:33], v[48:49]
	v_add_f64 v[36:37], v[130:131], -v[132:133]
	v_add_f64 v[50:51], v[124:125], -v[126:127]
	v_fma_f64 v[106:107], v[30:31], v[46:47], -v[24:25]
	v_mul_f64 v[24:25], v[30:31], v[48:49]
	buffer_store_dword v46, off, s[52:55], 0 offset:284 ; 4-byte Folded Spill
	s_nop 0
	buffer_store_dword v47, off, s[52:55], 0 offset:288 ; 4-byte Folded Spill
	buffer_store_dword v48, off, s[52:55], 0 offset:292 ; 4-byte Folded Spill
	;; [unrolled: 1-line block ×3, first 2 shown]
	v_add_f64 v[30:31], v[132:133], -v[134:135]
	v_add_f64 v[48:49], v[126:127], -v[124:125]
	v_fma_f64 v[94:95], v[32:33], v[46:47], v[24:25]
	s_waitcnt lgkmcnt(1)
	v_mul_f64 v[24:25], v[22:23], v[44:45]
	v_add_f64 v[32:33], v[144:145], -v[142:143]
	v_add_f64 v[46:47], v[120:121], -v[122:123]
	v_fma_f64 v[108:109], v[20:21], v[42:43], -v[24:25]
	v_mul_f64 v[20:21], v[20:21], v[44:45]
	buffer_store_dword v42, off, s[52:55], 0 offset:268 ; 4-byte Folded Spill
	s_nop 0
	buffer_store_dword v43, off, s[52:55], 0 offset:272 ; 4-byte Folded Spill
	buffer_store_dword v44, off, s[52:55], 0 offset:276 ; 4-byte Folded Spill
	;; [unrolled: 1-line block ×3, first 2 shown]
	v_add_f64 v[24:25], v[138:139], -v[140:141]
	v_add_f64 v[44:45], v[114:115], -v[116:117]
	v_add_f64 v[48:49], v[46:47], v[48:49]
	v_add_f64 v[32:33], v[24:25], v[32:33]
	v_fma_f64 v[96:97], v[22:23], v[42:43], v[20:21]
	s_waitcnt lgkmcnt(0)
	v_mul_f64 v[20:21], v[18:19], v[40:41]
	v_add_f64 v[22:23], v[130:131], -v[136:137]
	v_add_f64 v[42:43], v[134:135], -v[136:137]
	v_fma_f64 v[110:111], v[16:17], v[38:39], -v[20:21]
	v_mul_f64 v[16:17], v[16:17], v[40:41]
	buffer_store_dword v38, off, s[52:55], 0 offset:252 ; 4-byte Folded Spill
	s_nop 0
	buffer_store_dword v39, off, s[52:55], 0 offset:256 ; 4-byte Folded Spill
	buffer_store_dword v40, off, s[52:55], 0 offset:260 ; 4-byte Folded Spill
	;; [unrolled: 1-line block ×3, first 2 shown]
	v_add_f64 v[40:41], v[136:137], -v[134:135]
	s_waitcnt vmcnt(0)
	s_barrier
	v_add_f64 v[36:37], v[36:37], v[40:41]
	v_add_f64 v[40:41], v[132:133], -v[130:131]
	v_add_f64 v[40:41], v[40:41], v[42:43]
	v_fma_f64 v[98:99], v[18:19], v[38:39], v[16:17]
	v_add_f64 v[18:19], v[140:141], v[142:143]
	v_add_f64 v[16:17], v[26:27], v[138:139]
	v_add_f64 v[38:39], v[140:141], -v[142:143]
	v_fma_f64 v[18:19], v[18:19], -0.5, v[26:27]
	v_add_f64 v[16:17], v[16:17], v[140:141]
	v_fma_f64 v[20:21], v[22:23], s[16:17], v[18:19]
	v_fma_f64 v[18:19], v[22:23], s[14:15], v[18:19]
	v_add_f64 v[16:17], v[16:17], v[142:143]
	v_fma_f64 v[20:21], v[30:31], s[12:13], v[20:21]
	v_fma_f64 v[18:19], v[30:31], s[18:19], v[18:19]
	;; [unrolled: 3-line block ×3, first 2 shown]
	v_add_f64 v[18:19], v[138:139], v[144:145]
	v_add_f64 v[32:33], v[140:141], -v[138:139]
	v_fma_f64 v[18:19], v[18:19], -0.5, v[26:27]
	v_add_f64 v[32:33], v[32:33], v[34:35]
	v_fma_f64 v[26:27], v[30:31], s[14:15], v[18:19]
	v_fma_f64 v[18:19], v[30:31], s[16:17], v[18:19]
	;; [unrolled: 1-line block ×4, first 2 shown]
	v_add_f64 v[22:23], v[132:133], v[134:135]
	v_fma_f64 v[34:35], v[32:33], s[2:3], v[26:27]
	v_fma_f64 v[30:31], v[32:33], s[2:3], v[18:19]
	v_fma_f64 v[22:23], v[22:23], -0.5, v[28:29]
	v_add_f64 v[32:33], v[138:139], -v[144:145]
	v_add_f64 v[18:19], v[28:29], v[130:131]
	v_fma_f64 v[26:27], v[32:33], s[14:15], v[22:23]
	v_fma_f64 v[22:23], v[32:33], s[16:17], v[22:23]
	v_add_f64 v[18:19], v[18:19], v[132:133]
	v_fma_f64 v[26:27], v[38:39], s[18:19], v[26:27]
	v_fma_f64 v[22:23], v[38:39], s[12:13], v[22:23]
	v_add_f64 v[18:19], v[18:19], v[134:135]
	v_mov_b32_e32 v134, s5
	v_fma_f64 v[26:27], v[36:37], s[2:3], v[26:27]
	v_fma_f64 v[22:23], v[36:37], s[2:3], v[22:23]
	v_add_f64 v[36:37], v[130:131], v[136:137]
	v_add_f64 v[18:19], v[18:19], v[136:137]
	v_fma_f64 v[28:29], v[36:37], -0.5, v[28:29]
	v_fma_f64 v[36:37], v[38:39], s[16:17], v[28:29]
	v_fma_f64 v[28:29], v[38:39], s[14:15], v[28:29]
	;; [unrolled: 1-line block ×6, first 2 shown]
	v_add_f64 v[28:29], v[12:13], v[120:121]
	v_add_f64 v[40:41], v[112:113], -v[118:119]
	v_add_f64 v[28:29], v[28:29], v[122:123]
	v_add_f64 v[28:29], v[28:29], v[124:125]
	;; [unrolled: 1-line block ×4, first 2 shown]
	v_fma_f64 v[28:29], v[28:29], -0.5, v[12:13]
	v_fma_f64 v[42:43], v[40:41], s[16:17], v[28:29]
	v_fma_f64 v[28:29], v[40:41], s[14:15], v[28:29]
	;; [unrolled: 1-line block ×6, first 2 shown]
	v_add_f64 v[28:29], v[120:121], v[126:127]
	v_add_f64 v[48:49], v[122:123], -v[120:121]
	v_fma_f64 v[12:13], v[28:29], -0.5, v[12:13]
	v_add_f64 v[48:49], v[48:49], v[50:51]
	v_fma_f64 v[28:29], v[44:45], s[14:15], v[12:13]
	v_fma_f64 v[12:13], v[44:45], s[16:17], v[12:13]
	;; [unrolled: 1-line block ×5, first 2 shown]
	v_add_f64 v[28:29], v[14:15], v[112:113]
	v_fma_f64 v[12:13], v[48:49], s[2:3], v[12:13]
	v_add_f64 v[48:49], v[112:113], -v[114:115]
	v_add_f64 v[28:29], v[28:29], v[114:115]
	v_add_f64 v[52:53], v[48:49], v[52:53]
	;; [unrolled: 1-line block ×5, first 2 shown]
	v_fma_f64 v[28:29], v[28:29], -0.5, v[14:15]
	v_fma_f64 v[44:45], v[54:55], s[14:15], v[28:29]
	v_fma_f64 v[28:29], v[54:55], s[16:17], v[28:29]
	;; [unrolled: 1-line block ×6, first 2 shown]
	v_add_f64 v[28:29], v[112:113], v[118:119]
	v_add_f64 v[52:53], v[114:115], -v[112:113]
	v_add_f64 v[112:113], v[70:71], -v[72:73]
	;; [unrolled: 1-line block ×3, first 2 shown]
	v_fma_f64 v[14:15], v[28:29], -0.5, v[14:15]
	v_add_f64 v[58:59], v[52:53], v[58:59]
	v_fma_f64 v[28:29], v[56:57], s[16:17], v[14:15]
	v_fma_f64 v[14:15], v[56:57], s[14:15], v[14:15]
	v_add_f64 v[56:57], v[68:69], -v[74:75]
	v_fma_f64 v[28:29], v[54:55], s[18:19], v[28:29]
	v_fma_f64 v[14:15], v[54:55], s[12:13], v[14:15]
	;; [unrolled: 1-line block ×3, first 2 shown]
	v_add_f64 v[28:29], v[8:9], v[78:79]
	v_fma_f64 v[14:15], v[58:59], s[2:3], v[14:15]
	v_add_f64 v[28:29], v[28:29], v[82:83]
	v_add_f64 v[28:29], v[28:29], v[64:65]
	;; [unrolled: 1-line block ×4, first 2 shown]
	v_fma_f64 v[28:29], v[28:29], -0.5, v[8:9]
	v_fma_f64 v[58:59], v[56:57], s[16:17], v[28:29]
	v_fma_f64 v[28:29], v[56:57], s[14:15], v[28:29]
	;; [unrolled: 1-line block ×6, first 2 shown]
	v_add_f64 v[28:29], v[78:79], v[60:61]
	v_add_f64 v[66:67], v[82:83], -v[78:79]
	v_add_f64 v[78:79], v[78:79], -v[60:61]
	;; [unrolled: 1-line block ×4, first 2 shown]
	v_fma_f64 v[8:9], v[28:29], -0.5, v[8:9]
	v_add_f64 v[114:115], v[66:67], v[114:115]
	v_fma_f64 v[28:29], v[112:113], s[14:15], v[8:9]
	v_fma_f64 v[8:9], v[112:113], s[16:17], v[8:9]
	v_add_f64 v[112:113], v[74:75], -v[72:73]
	v_fma_f64 v[28:29], v[56:57], s[12:13], v[28:29]
	v_fma_f64 v[8:9], v[56:57], s[18:19], v[8:9]
	v_add_f64 v[112:113], v[64:65], v[112:113]
	v_fma_f64 v[66:67], v[114:115], s[2:3], v[28:29]
	v_add_f64 v[28:29], v[10:11], v[68:69]
	v_fma_f64 v[8:9], v[114:115], s[2:3], v[8:9]
	v_add_f64 v[114:115], v[100:101], -v[102:103]
	v_add_f64 v[28:29], v[28:29], v[70:71]
	v_add_f64 v[28:29], v[28:29], v[72:73]
	;; [unrolled: 1-line block ×4, first 2 shown]
	v_fma_f64 v[28:29], v[28:29], -0.5, v[10:11]
	v_fma_f64 v[60:61], v[78:79], s[14:15], v[28:29]
	v_fma_f64 v[28:29], v[78:79], s[16:17], v[28:29]
	;; [unrolled: 1-line block ×6, first 2 shown]
	v_add_f64 v[28:29], v[68:69], v[74:75]
	v_add_f64 v[68:69], v[70:71], -v[68:69]
	v_add_f64 v[70:71], v[72:73], -v[74:75]
	;; [unrolled: 1-line block ×4, first 2 shown]
	v_fma_f64 v[10:11], v[28:29], -0.5, v[10:11]
	v_add_f64 v[70:71], v[68:69], v[70:71]
	v_fma_f64 v[28:29], v[82:83], s[16:17], v[10:11]
	v_fma_f64 v[10:11], v[82:83], s[14:15], v[10:11]
	v_add_f64 v[82:83], v[102:103], -v[100:101]
	v_fma_f64 v[28:29], v[78:79], s[18:19], v[28:29]
	v_fma_f64 v[10:11], v[78:79], s[12:13], v[10:11]
	v_add_f64 v[78:79], v[76:77], -v[80:81]
	v_fma_f64 v[68:69], v[70:71], s[2:3], v[28:29]
	v_add_f64 v[28:29], v[4:5], v[76:77]
	v_fma_f64 v[10:11], v[70:71], s[2:3], v[10:11]
	v_add_f64 v[82:83], v[78:79], v[82:83]
	v_add_f64 v[28:29], v[28:29], v[80:81]
	;; [unrolled: 1-line block ×5, first 2 shown]
	v_add_f64 v[100:101], v[80:81], -v[100:101]
	v_fma_f64 v[28:29], v[28:29], -0.5, v[4:5]
	v_fma_f64 v[74:75], v[72:73], s[16:17], v[28:29]
	v_fma_f64 v[28:29], v[72:73], s[14:15], v[28:29]
	v_fma_f64 v[74:75], v[112:113], s[12:13], v[74:75]
	v_fma_f64 v[28:29], v[112:113], s[18:19], v[28:29]
	v_fma_f64 v[78:79], v[82:83], s[2:3], v[74:75]
	v_fma_f64 v[74:75], v[82:83], s[2:3], v[28:29]
	v_add_f64 v[28:29], v[76:77], v[102:103]
	v_add_f64 v[82:83], v[80:81], -v[76:77]
	v_add_f64 v[102:103], v[76:77], -v[102:103]
	;; [unrolled: 1-line block ×3, first 2 shown]
	v_fma_f64 v[4:5], v[28:29], -0.5, v[4:5]
	v_add_f64 v[114:115], v[82:83], v[114:115]
	v_fma_f64 v[28:29], v[112:113], s[14:15], v[4:5]
	v_fma_f64 v[4:5], v[112:113], s[16:17], v[4:5]
	v_add_f64 v[112:113], v[90:91], -v[88:89]
	v_fma_f64 v[28:29], v[72:73], s[12:13], v[28:29]
	v_fma_f64 v[4:5], v[72:73], s[18:19], v[4:5]
	v_add_f64 v[112:113], v[80:81], v[112:113]
	v_fma_f64 v[82:83], v[114:115], s[2:3], v[28:29]
	v_add_f64 v[28:29], v[6:7], v[84:85]
	v_fma_f64 v[4:5], v[114:115], s[2:3], v[4:5]
	v_add_f64 v[114:115], v[108:109], -v[110:111]
	v_add_f64 v[28:29], v[28:29], v[86:87]
	v_add_f64 v[28:29], v[28:29], v[88:89]
	;; [unrolled: 1-line block ×4, first 2 shown]
	v_fma_f64 v[28:29], v[28:29], -0.5, v[6:7]
	v_fma_f64 v[76:77], v[102:103], s[14:15], v[28:29]
	v_fma_f64 v[28:29], v[102:103], s[16:17], v[28:29]
	;; [unrolled: 1-line block ×6, first 2 shown]
	v_add_f64 v[28:29], v[84:85], v[90:91]
	v_add_f64 v[84:85], v[86:87], -v[84:85]
	v_add_f64 v[86:87], v[88:89], -v[90:91]
	v_add_f64 v[88:89], v[92:93], -v[98:99]
	v_add_f64 v[112:113], v[110:111], -v[108:109]
	v_fma_f64 v[6:7], v[28:29], -0.5, v[6:7]
	v_add_f64 v[86:87], v[84:85], v[86:87]
	v_fma_f64 v[28:29], v[100:101], s[16:17], v[6:7]
	v_fma_f64 v[6:7], v[100:101], s[14:15], v[6:7]
	v_add_f64 v[100:101], v[104:105], -v[106:107]
	v_fma_f64 v[28:29], v[102:103], s[18:19], v[28:29]
	v_fma_f64 v[6:7], v[102:103], s[12:13], v[6:7]
	v_add_f64 v[102:103], v[94:95], -v[96:97]
	v_add_f64 v[112:113], v[100:101], v[112:113]
	v_fma_f64 v[84:85], v[86:87], s[2:3], v[28:29]
	v_add_f64 v[28:29], v[0:1], v[104:105]
	v_fma_f64 v[6:7], v[86:87], s[2:3], v[6:7]
	v_add_f64 v[28:29], v[28:29], v[106:107]
	v_add_f64 v[28:29], v[28:29], v[108:109]
	;; [unrolled: 1-line block ×4, first 2 shown]
	v_fma_f64 v[28:29], v[28:29], -0.5, v[0:1]
	v_fma_f64 v[90:91], v[88:89], s[16:17], v[28:29]
	v_fma_f64 v[28:29], v[88:89], s[14:15], v[28:29]
	;; [unrolled: 1-line block ×6, first 2 shown]
	v_add_f64 v[28:29], v[104:105], v[110:111]
	v_add_f64 v[90:91], v[106:107], -v[104:105]
	v_add_f64 v[104:105], v[104:105], -v[110:111]
	;; [unrolled: 1-line block ×5, first 2 shown]
	v_fma_f64 v[28:29], v[28:29], -0.5, v[0:1]
	v_add_f64 v[90:91], v[90:91], v[114:115]
	v_add_f64 v[108:109], v[108:109], v[110:111]
	v_fma_f64 v[0:1], v[102:103], s[14:15], v[28:29]
	v_fma_f64 v[28:29], v[102:103], s[16:17], v[28:29]
	;; [unrolled: 1-line block ×6, first 2 shown]
	v_add_f64 v[28:29], v[2:3], v[92:93]
	v_add_f64 v[28:29], v[28:29], v[94:95]
	;; [unrolled: 1-line block ×5, first 2 shown]
	v_fma_f64 v[28:29], v[28:29], -0.5, v[2:3]
	v_fma_f64 v[102:103], v[104:105], s[14:15], v[28:29]
	v_fma_f64 v[28:29], v[104:105], s[16:17], v[28:29]
	v_fma_f64 v[102:103], v[106:107], s[18:19], v[102:103]
	v_fma_f64 v[28:29], v[106:107], s[12:13], v[28:29]
	v_fma_f64 v[102:103], v[108:109], s[2:3], v[102:103]
	v_fma_f64 v[114:115], v[108:109], s[2:3], v[28:29]
	v_add_f64 v[28:29], v[92:93], v[98:99]
	v_add_f64 v[92:93], v[94:95], -v[92:93]
	v_add_f64 v[94:95], v[96:97], -v[98:99]
	v_fma_f64 v[28:29], v[28:29], -0.5, v[2:3]
	v_add_f64 v[92:93], v[92:93], v[94:95]
	v_fma_f64 v[2:3], v[106:107], s[16:17], v[28:29]
	v_fma_f64 v[28:29], v[106:107], s[14:15], v[28:29]
	v_fma_f64 v[2:3], v[104:105], s[18:19], v[2:3]
	v_fma_f64 v[28:29], v[104:105], s[12:13], v[28:29]
	v_fma_f64 v[2:3], v[92:93], s[2:3], v[2:3]
	v_fma_f64 v[92:93], v[92:93], s[2:3], v[28:29]
	v_mul_u32_u24_e32 v28, 0x41, v146
	v_add_u32_sdwa v28, v28, v147 dst_sel:DWORD dst_unused:UNUSED_PAD src0_sel:DWORD src1_sel:BYTE_0
	v_lshl_add_u32 v28, v28, 4, v194
	ds_write_b128 v28, v[16:19]
	ds_write_b128 v28, v[24:27] offset:208
	ds_write_b128 v28, v[34:37] offset:416
	;; [unrolled: 1-line block ×3, first 2 shown]
	v_mul_u32_u24_e32 v16, 0x41, v148
	v_add_u32_sdwa v16, v16, v149 dst_sel:DWORD dst_unused:UNUSED_PAD src0_sel:DWORD src1_sel:BYTE_0
	v_lshl_add_u32 v16, v16, 4, v194
	buffer_store_dword v28, off, s[52:55], 0 offset:440 ; 4-byte Folded Spill
	ds_write_b128 v28, v[20:23] offset:832
	ds_write_b128 v16, v[38:41]
	ds_write_b128 v16, v[46:49] offset:208
	ds_write_b128 v16, v[50:53] offset:416
	;; [unrolled: 1-line block ×3, first 2 shown]
	v_mul_u32_u24_e32 v12, 0x41, v150
	v_add_u32_sdwa v12, v12, v151 dst_sel:DWORD dst_unused:UNUSED_PAD src0_sel:DWORD src1_sel:BYTE_0
	v_lshl_add_u32 v12, v12, 4, v194
	buffer_store_dword v16, off, s[52:55], 0 offset:372 ; 4-byte Folded Spill
	ds_write_b128 v16, v[42:45] offset:832
	ds_write_b128 v12, v[54:57]
	ds_write_b128 v12, v[62:65] offset:208
	ds_write_b128 v12, v[66:69] offset:416
	;; [unrolled: 1-line block ×3, first 2 shown]
	v_mad_legacy_u16 v8, v154, s33, v155
	v_lshl_add_u32 v255, v8, 4, v194
	buffer_store_dword v12, off, s[52:55], 0 offset:320 ; 4-byte Folded Spill
	ds_write_b128 v12, v[58:61] offset:832
	ds_write_b128 v255, v[70:73]
	ds_write_b128 v255, v[78:81] offset:208
	ds_write_b128 v255, v[82:85] offset:416
	;; [unrolled: 1-line block ×4, first 2 shown]
	v_mad_legacy_u16 v4, v156, s33, v157
	v_lshl_add_u32 v4, v4, 4, v194
	ds_write_b128 v4, v[86:89]
	ds_write_b128 v4, v[100:103] offset:208
	ds_write_b128 v4, v[0:3] offset:416
	;; [unrolled: 1-line block ×3, first 2 shown]
	v_lshlrev_b32_e32 v100, 6, v178
	buffer_store_dword v4, off, s[52:55], 0 offset:316 ; 4-byte Folded Spill
	ds_write_b128 v4, v[112:115] offset:832
	s_waitcnt vmcnt(0) lgkmcnt(0)
	s_barrier
	ds_read_b128 v[28:31], v174
	ds_read_b128 v[52:55], v174 offset:5200
	ds_read_b128 v[56:59], v174 offset:10400
	;; [unrolled: 1-line block ×24, first 2 shown]
	global_load_dwordx4 v[136:139], v100, s[4:5] offset:880
	global_load_dwordx4 v[140:143], v100, s[4:5] offset:864
	;; [unrolled: 1-line block ×4, first 2 shown]
	v_add_co_u32_e64 v135, s[0:1], s4, v100
	v_addc_co_u32_e64 v154, s[0:1], 0, v134, s[0:1]
	s_movk_i32 s0, 0xfd
	s_waitcnt vmcnt(0) lgkmcnt(14)
	v_mul_f64 v[100:101], v[54:55], v[150:151]
	v_fma_f64 v[124:125], v[52:53], v[148:149], -v[100:101]
	v_mul_f64 v[52:53], v[52:53], v[150:151]
	v_fma_f64 v[116:117], v[54:55], v[148:149], v[52:53]
	v_mul_f64 v[52:53], v[58:59], v[146:147]
	v_mul_f64 v[54:55], v[74:75], v[146:147]
	v_fma_f64 v[126:127], v[56:57], v[144:145], -v[52:53]
	v_mul_f64 v[52:53], v[56:57], v[146:147]
	v_mul_f64 v[56:57], v[78:79], v[142:143]
	v_fma_f64 v[118:119], v[58:59], v[144:145], v[52:53]
	v_mul_f64 v[52:53], v[62:63], v[142:143]
	v_fma_f64 v[112:113], v[76:77], v[140:141], -v[56:57]
	v_mul_f64 v[56:57], v[76:77], v[142:143]
	v_mul_f64 v[58:59], v[82:83], v[138:139]
	v_fma_f64 v[130:131], v[60:61], v[140:141], -v[52:53]
	v_mul_f64 v[52:53], v[60:61], v[142:143]
	v_fma_f64 v[56:57], v[78:79], v[140:141], v[56:57]
	v_fma_f64 v[114:115], v[80:81], v[136:137], -v[58:59]
	v_mul_f64 v[58:59], v[80:81], v[138:139]
	v_fma_f64 v[120:121], v[62:63], v[140:141], v[52:53]
	v_mul_f64 v[52:53], v[66:67], v[138:139]
	v_mul_lo_u16_sdwa v62, v153, s0 dst_sel:DWORD dst_unused:UNUSED_PAD src0_sel:BYTE_0 src1_sel:DWORD
	v_lshrrev_b16_e32 v62, 14, v62
	v_mul_lo_u16_e32 v62, 0x41, v62
	v_sub_u16_e32 v62, v153, v62
	v_and_b32_e32 v155, 0xff, v62
	v_lshlrev_b32_e32 v62, 6, v155
	v_fma_f64 v[58:59], v[82:83], v[136:137], v[58:59]
	v_fma_f64 v[132:133], v[64:65], v[136:137], -v[52:53]
	v_mul_f64 v[52:53], v[64:65], v[138:139]
	v_fma_f64 v[64:65], v[72:73], v[144:145], -v[54:55]
	v_mul_f64 v[54:55], v[72:73], v[146:147]
	v_fma_f64 v[122:123], v[66:67], v[136:137], v[52:53]
	v_mul_f64 v[52:53], v[70:71], v[150:151]
	v_fma_f64 v[54:55], v[74:75], v[144:145], v[54:55]
	v_fma_f64 v[60:61], v[68:69], v[148:149], -v[52:53]
	v_mul_f64 v[52:53], v[68:69], v[150:151]
	v_fma_f64 v[52:53], v[70:71], v[148:149], v[52:53]
	global_load_dwordx4 v[100:103], v62, s[4:5] offset:880
	global_load_dwordx4 v[72:75], v62, s[4:5] offset:864
	;; [unrolled: 1-line block ×4, first 2 shown]
	s_movk_i32 s5, 0xfc1
	s_waitcnt vmcnt(0) lgkmcnt(13)
	v_mul_f64 v[62:63], v[86:87], v[70:71]
	v_mul_f64 v[66:67], v[84:85], v[70:71]
	v_fma_f64 v[62:63], v[84:85], v[68:69], -v[62:63]
	buffer_store_dword v68, off, s[52:55], 0 offset:376 ; 4-byte Folded Spill
	s_nop 0
	buffer_store_dword v69, off, s[52:55], 0 offset:380 ; 4-byte Folded Spill
	buffer_store_dword v70, off, s[52:55], 0 offset:384 ; 4-byte Folded Spill
	;; [unrolled: 1-line block ×3, first 2 shown]
	s_waitcnt lgkmcnt(11)
	v_mul_f64 v[70:71], v[94:95], v[74:75]
	v_fma_f64 v[66:67], v[86:87], v[68:69], v[66:67]
	v_mul_f64 v[68:69], v[90:91], v[80:81]
	v_fma_f64 v[76:77], v[88:89], v[78:79], -v[68:69]
	v_mul_f64 v[68:69], v[88:89], v[80:81]
	buffer_store_dword v78, off, s[52:55], 0 offset:356 ; 4-byte Folded Spill
	s_nop 0
	buffer_store_dword v79, off, s[52:55], 0 offset:360 ; 4-byte Folded Spill
	buffer_store_dword v80, off, s[52:55], 0 offset:364 ; 4-byte Folded Spill
	buffer_store_dword v81, off, s[52:55], 0 offset:368 ; 4-byte Folded Spill
	v_fma_f64 v[80:81], v[92:93], v[72:73], -v[70:71]
	v_mul_f64 v[70:71], v[92:93], v[74:75]
	buffer_store_dword v72, off, s[52:55], 0 offset:340 ; 4-byte Folded Spill
	s_nop 0
	buffer_store_dword v73, off, s[52:55], 0 offset:344 ; 4-byte Folded Spill
	buffer_store_dword v74, off, s[52:55], 0 offset:348 ; 4-byte Folded Spill
	;; [unrolled: 1-line block ×3, first 2 shown]
	v_mul_u32_u24_sdwa v74, v152, s5 dst_sel:DWORD dst_unused:UNUSED_PAD src0_sel:WORD_0 src1_sel:DWORD
	v_lshrrev_b32_e32 v74, 18, v74
	v_mul_lo_u16_e32 v74, 0x41, v74
	v_sub_u16_e32 v156, v152, v74
	v_lshlrev_b16_e32 v74, 6, v156
	v_add_co_u32_e64 v74, s[0:1], s4, v74
	v_addc_co_u32_e64 v75, s[0:1], 0, v134, s[0:1]
	v_fma_f64 v[68:69], v[90:91], v[78:79], v[68:69]
	v_fma_f64 v[70:71], v[94:95], v[72:73], v[70:71]
	s_waitcnt lgkmcnt(10)
	v_mul_f64 v[72:73], v[98:99], v[102:103]
	v_fma_f64 v[110:111], v[96:97], v[100:101], -v[72:73]
	v_mul_f64 v[72:73], v[96:97], v[102:103]
	buffer_store_dword v100, off, s[52:55], 0 offset:324 ; 4-byte Folded Spill
	s_nop 0
	buffer_store_dword v101, off, s[52:55], 0 offset:328 ; 4-byte Folded Spill
	buffer_store_dword v102, off, s[52:55], 0 offset:332 ; 4-byte Folded Spill
	;; [unrolled: 1-line block ×3, first 2 shown]
	v_fma_f64 v[72:73], v[98:99], v[100:101], v[72:73]
	global_load_dwordx4 v[88:91], v[74:75], off offset:880
	global_load_dwordx4 v[92:95], v[74:75], off offset:864
	;; [unrolled: 1-line block ×4, first 2 shown]
	s_waitcnt vmcnt(0) lgkmcnt(8)
	v_mul_f64 v[74:75], v[50:51], v[98:99]
	v_fma_f64 v[74:75], v[48:49], v[96:97], -v[74:75]
	v_mul_f64 v[48:49], v[48:49], v[98:99]
	buffer_store_dword v96, off, s[52:55], 0 offset:444 ; 4-byte Folded Spill
	s_nop 0
	buffer_store_dword v97, off, s[52:55], 0 offset:448 ; 4-byte Folded Spill
	buffer_store_dword v98, off, s[52:55], 0 offset:452 ; 4-byte Folded Spill
	buffer_store_dword v99, off, s[52:55], 0 offset:456 ; 4-byte Folded Spill
	v_fma_f64 v[82:83], v[50:51], v[96:97], v[48:49]
	s_waitcnt lgkmcnt(7)
	v_mul_f64 v[48:49], v[46:47], v[86:87]
	v_add_f64 v[50:51], v[112:113], -v[114:115]
	v_fma_f64 v[78:79], v[44:45], v[84:85], -v[48:49]
	v_mul_f64 v[44:45], v[44:45], v[86:87]
	buffer_store_dword v84, off, s[52:55], 0 offset:424 ; 4-byte Folded Spill
	s_nop 0
	buffer_store_dword v85, off, s[52:55], 0 offset:428 ; 4-byte Folded Spill
	buffer_store_dword v86, off, s[52:55], 0 offset:432 ; 4-byte Folded Spill
	;; [unrolled: 1-line block ×3, first 2 shown]
	v_fma_f64 v[84:85], v[46:47], v[84:85], v[44:45]
	s_waitcnt lgkmcnt(6)
	v_mul_f64 v[44:45], v[42:43], v[94:95]
	v_fma_f64 v[98:99], v[40:41], v[92:93], -v[44:45]
	v_mul_f64 v[40:41], v[40:41], v[94:95]
	buffer_store_dword v92, off, s[52:55], 0 offset:408 ; 4-byte Folded Spill
	s_nop 0
	buffer_store_dword v93, off, s[52:55], 0 offset:412 ; 4-byte Folded Spill
	buffer_store_dword v94, off, s[52:55], 0 offset:416 ; 4-byte Folded Spill
	;; [unrolled: 1-line block ×3, first 2 shown]
	v_fma_f64 v[86:87], v[42:43], v[92:93], v[40:41]
	s_waitcnt lgkmcnt(5)
	v_mul_f64 v[40:41], v[38:39], v[90:91]
	v_fma_f64 v[100:101], v[36:37], v[88:89], -v[40:41]
	v_mul_f64 v[36:37], v[36:37], v[90:91]
	buffer_store_dword v88, off, s[52:55], 0 offset:392 ; 4-byte Folded Spill
	s_nop 0
	buffer_store_dword v89, off, s[52:55], 0 offset:396 ; 4-byte Folded Spill
	buffer_store_dword v90, off, s[52:55], 0 offset:400 ; 4-byte Folded Spill
	;; [unrolled: 1-line block ×3, first 2 shown]
	v_fma_f64 v[88:89], v[38:39], v[88:89], v[36:37]
	v_mul_u32_u24_sdwa v36, v177, s5 dst_sel:DWORD dst_unused:UNUSED_PAD src0_sel:WORD_0 src1_sel:DWORD
	v_lshrrev_b32_e32 v36, 18, v36
	v_mul_lo_u16_e32 v36, 0x41, v36
	v_sub_u16_e32 v157, v177, v36
	v_lshlrev_b16_e32 v36, 6, v157
	v_add_co_u32_e64 v36, s[0:1], s4, v36
	v_addc_co_u32_e64 v37, s[0:1], 0, v134, s[0:1]
	global_load_dwordx4 v[38:41], v[36:37], off offset:880
	global_load_dwordx4 v[42:45], v[36:37], off offset:864
	;; [unrolled: 1-line block ×4, first 2 shown]
	s_movk_i32 s5, 0x1000
	s_waitcnt vmcnt(0) lgkmcnt(3)
	v_mul_f64 v[36:37], v[34:35], v[92:93]
	v_fma_f64 v[102:103], v[32:33], v[90:91], -v[36:37]
	v_mul_f64 v[32:33], v[32:33], v[92:93]
	buffer_store_dword v90, off, s[52:55], 0 offset:508 ; 4-byte Folded Spill
	s_nop 0
	buffer_store_dword v91, off, s[52:55], 0 offset:512 ; 4-byte Folded Spill
	buffer_store_dword v92, off, s[52:55], 0 offset:516 ; 4-byte Folded Spill
	;; [unrolled: 1-line block ×3, first 2 shown]
	v_add_f64 v[36:37], v[124:125], -v[132:133]
	v_fma_f64 v[90:91], v[34:35], v[90:91], v[32:33]
	s_waitcnt lgkmcnt(2)
	v_mul_f64 v[32:33], v[26:27], v[48:49]
	v_add_f64 v[34:35], v[130:131], -v[132:133]
	v_fma_f64 v[104:105], v[24:25], v[46:47], -v[32:33]
	v_mul_f64 v[24:25], v[24:25], v[48:49]
	buffer_store_dword v46, off, s[52:55], 0 offset:492 ; 4-byte Folded Spill
	s_nop 0
	buffer_store_dword v47, off, s[52:55], 0 offset:496 ; 4-byte Folded Spill
	buffer_store_dword v48, off, s[52:55], 0 offset:500 ; 4-byte Folded Spill
	;; [unrolled: 1-line block ×3, first 2 shown]
	v_add_f64 v[32:33], v[132:133], -v[130:131]
	v_add_f64 v[48:49], v[114:115], -v[112:113]
	v_fma_f64 v[92:93], v[26:27], v[46:47], v[24:25]
	s_waitcnt lgkmcnt(1)
	v_mul_f64 v[24:25], v[22:23], v[44:45]
	v_add_f64 v[26:27], v[118:119], -v[120:121]
	v_add_f64 v[46:47], v[54:55], -v[56:57]
	v_fma_f64 v[106:107], v[20:21], v[42:43], -v[24:25]
	v_mul_f64 v[20:21], v[20:21], v[44:45]
	buffer_store_dword v42, off, s[52:55], 0 offset:476 ; 4-byte Folded Spill
	s_nop 0
	buffer_store_dword v43, off, s[52:55], 0 offset:480 ; 4-byte Folded Spill
	buffer_store_dword v44, off, s[52:55], 0 offset:484 ; 4-byte Folded Spill
	;; [unrolled: 1-line block ×3, first 2 shown]
	v_add_f64 v[24:25], v[124:125], -v[126:127]
	v_add_f64 v[44:45], v[60:61], -v[64:65]
	v_add_f64 v[32:33], v[24:25], v[32:33]
	v_add_f64 v[48:49], v[44:45], v[48:49]
	v_fma_f64 v[94:95], v[22:23], v[42:43], v[20:21]
	s_waitcnt lgkmcnt(0)
	v_mul_f64 v[20:21], v[18:19], v[40:41]
	v_add_f64 v[22:23], v[116:117], -v[122:123]
	v_add_f64 v[42:43], v[120:121], -v[122:123]
	v_fma_f64 v[108:109], v[16:17], v[38:39], -v[20:21]
	v_mul_f64 v[16:17], v[16:17], v[40:41]
	buffer_store_dword v38, off, s[52:55], 0 offset:460 ; 4-byte Folded Spill
	s_nop 0
	buffer_store_dword v39, off, s[52:55], 0 offset:464 ; 4-byte Folded Spill
	buffer_store_dword v40, off, s[52:55], 0 offset:468 ; 4-byte Folded Spill
	buffer_store_dword v41, off, s[52:55], 0 offset:472 ; 4-byte Folded Spill
	v_add_f64 v[40:41], v[122:123], -v[120:121]
	s_waitcnt vmcnt(0)
	s_barrier
	v_fma_f64 v[96:97], v[18:19], v[38:39], v[16:17]
	v_add_f64 v[18:19], v[126:127], v[130:131]
	v_add_f64 v[16:17], v[28:29], v[124:125]
	v_add_f64 v[38:39], v[126:127], -v[130:131]
	v_fma_f64 v[18:19], v[18:19], -0.5, v[28:29]
	v_add_f64 v[16:17], v[16:17], v[126:127]
	v_fma_f64 v[20:21], v[22:23], s[16:17], v[18:19]
	v_fma_f64 v[18:19], v[22:23], s[14:15], v[18:19]
	v_add_f64 v[16:17], v[16:17], v[130:131]
	v_fma_f64 v[20:21], v[26:27], s[12:13], v[20:21]
	v_fma_f64 v[18:19], v[26:27], s[18:19], v[18:19]
	;; [unrolled: 3-line block ×3, first 2 shown]
	v_add_f64 v[18:19], v[124:125], v[132:133]
	v_add_f64 v[32:33], v[126:127], -v[124:125]
	v_fma_f64 v[18:19], v[18:19], -0.5, v[28:29]
	v_add_f64 v[34:35], v[32:33], v[34:35]
	v_fma_f64 v[28:29], v[26:27], s[14:15], v[18:19]
	v_fma_f64 v[18:19], v[26:27], s[16:17], v[18:19]
	;; [unrolled: 1-line block ×4, first 2 shown]
	v_add_f64 v[22:23], v[118:119], v[120:121]
	v_fma_f64 v[32:33], v[34:35], s[2:3], v[28:29]
	v_fma_f64 v[28:29], v[34:35], s[2:3], v[18:19]
	v_fma_f64 v[22:23], v[22:23], -0.5, v[30:31]
	v_add_f64 v[34:35], v[116:117], -v[118:119]
	v_add_f64 v[18:19], v[30:31], v[116:117]
	v_fma_f64 v[26:27], v[36:37], s[14:15], v[22:23]
	v_fma_f64 v[22:23], v[36:37], s[16:17], v[22:23]
	v_add_f64 v[34:35], v[34:35], v[40:41]
	v_add_f64 v[40:41], v[118:119], -v[116:117]
	v_add_f64 v[18:19], v[18:19], v[118:119]
	v_fma_f64 v[26:27], v[38:39], s[18:19], v[26:27]
	v_fma_f64 v[22:23], v[38:39], s[12:13], v[22:23]
	v_add_f64 v[40:41], v[40:41], v[42:43]
	;; [unrolled: 5-line block ×3, first 2 shown]
	v_add_f64 v[18:19], v[18:19], v[122:123]
	v_fma_f64 v[30:31], v[34:35], -0.5, v[30:31]
	v_fma_f64 v[34:35], v[38:39], s[16:17], v[30:31]
	v_fma_f64 v[30:31], v[38:39], s[14:15], v[30:31]
	v_add_f64 v[38:39], v[64:65], v[112:113]
	v_fma_f64 v[34:35], v[36:37], s[18:19], v[34:35]
	v_fma_f64 v[30:31], v[36:37], s[12:13], v[30:31]
	v_fma_f64 v[38:39], v[38:39], -0.5, v[12:13]
	v_add_f64 v[36:37], v[12:13], v[60:61]
	v_fma_f64 v[34:35], v[40:41], s[2:3], v[34:35]
	v_fma_f64 v[30:31], v[40:41], s[2:3], v[30:31]
	v_fma_f64 v[40:41], v[42:43], s[16:17], v[38:39]
	v_fma_f64 v[38:39], v[42:43], s[14:15], v[38:39]
	v_add_f64 v[36:37], v[36:37], v[64:65]
	v_fma_f64 v[40:41], v[46:47], s[12:13], v[40:41]
	v_fma_f64 v[38:39], v[46:47], s[18:19], v[38:39]
	v_add_f64 v[36:37], v[36:37], v[112:113]
	v_fma_f64 v[44:45], v[48:49], s[2:3], v[40:41]
	v_fma_f64 v[40:41], v[48:49], s[2:3], v[38:39]
	v_add_f64 v[38:39], v[60:61], v[114:115]
	v_add_f64 v[48:49], v[64:65], -v[60:61]
	v_add_f64 v[60:61], v[60:61], -v[114:115]
	;; [unrolled: 1-line block ×4, first 2 shown]
	v_add_f64 v[36:37], v[36:37], v[114:115]
	v_add_f64 v[114:115], v[80:81], -v[110:111]
	v_fma_f64 v[12:13], v[38:39], -0.5, v[12:13]
	v_add_f64 v[50:51], v[48:49], v[50:51]
	v_fma_f64 v[38:39], v[46:47], s[14:15], v[12:13]
	v_fma_f64 v[12:13], v[46:47], s[16:17], v[12:13]
	;; [unrolled: 1-line block ×4, first 2 shown]
	v_add_f64 v[42:43], v[54:55], v[56:57]
	v_fma_f64 v[48:49], v[50:51], s[2:3], v[38:39]
	v_fma_f64 v[12:13], v[50:51], s[2:3], v[12:13]
	v_fma_f64 v[42:43], v[42:43], -0.5, v[14:15]
	v_add_f64 v[50:51], v[52:53], -v[54:55]
	v_add_f64 v[38:39], v[14:15], v[52:53]
	v_fma_f64 v[46:47], v[60:61], s[14:15], v[42:43]
	v_fma_f64 v[42:43], v[60:61], s[16:17], v[42:43]
	v_add_f64 v[50:51], v[50:51], v[112:113]
	v_add_f64 v[38:39], v[38:39], v[54:55]
	v_add_f64 v[112:113], v[68:69], -v[70:71]
	v_fma_f64 v[46:47], v[64:65], s[18:19], v[46:47]
	v_fma_f64 v[42:43], v[64:65], s[12:13], v[42:43]
	v_add_f64 v[38:39], v[38:39], v[56:57]
	v_fma_f64 v[46:47], v[50:51], s[2:3], v[46:47]
	v_fma_f64 v[42:43], v[50:51], s[2:3], v[42:43]
	v_add_f64 v[50:51], v[52:53], v[58:59]
	v_add_f64 v[52:53], v[54:55], -v[52:53]
	v_add_f64 v[54:55], v[56:57], -v[58:59]
	v_add_f64 v[38:39], v[38:39], v[58:59]
	v_add_f64 v[58:59], v[66:67], -v[72:73]
	v_fma_f64 v[14:15], v[50:51], -0.5, v[14:15]
	v_add_f64 v[52:53], v[52:53], v[54:55]
	v_add_f64 v[54:55], v[76:77], v[80:81]
	v_fma_f64 v[50:51], v[64:65], s[16:17], v[14:15]
	v_fma_f64 v[14:15], v[64:65], s[14:15], v[14:15]
	v_add_f64 v[64:65], v[110:111], -v[80:81]
	v_fma_f64 v[54:55], v[54:55], -0.5, v[8:9]
	v_fma_f64 v[50:51], v[60:61], s[18:19], v[50:51]
	v_fma_f64 v[14:15], v[60:61], s[12:13], v[14:15]
	v_add_f64 v[60:61], v[62:63], -v[76:77]
	v_fma_f64 v[56:57], v[58:59], s[16:17], v[54:55]
	v_fma_f64 v[54:55], v[58:59], s[14:15], v[54:55]
	;; [unrolled: 1-line block ×4, first 2 shown]
	v_add_f64 v[64:65], v[60:61], v[64:65]
	v_fma_f64 v[56:57], v[112:113], s[12:13], v[56:57]
	v_fma_f64 v[54:55], v[112:113], s[18:19], v[54:55]
	v_add_f64 v[52:53], v[8:9], v[62:63]
	ds_write_b128 v174, v[16:19]
	ds_write_b128 v174, v[24:27] offset:1040
	ds_write_b128 v174, v[32:35] offset:2080
	;; [unrolled: 1-line block ×9, first 2 shown]
	v_lshl_add_u32 v12, v155, 4, v194
	v_fma_f64 v[60:61], v[64:65], s[2:3], v[56:57]
	v_fma_f64 v[56:57], v[64:65], s[2:3], v[54:55]
	v_add_f64 v[54:55], v[62:63], v[110:111]
	v_add_f64 v[52:53], v[52:53], v[76:77]
	v_add_f64 v[64:65], v[76:77], -v[62:63]
	v_add_f64 v[76:77], v[76:77], -v[80:81]
	v_fma_f64 v[8:9], v[54:55], -0.5, v[8:9]
	v_add_f64 v[52:53], v[52:53], v[80:81]
	v_add_f64 v[80:81], v[66:67], -v[68:69]
	v_add_f64 v[114:115], v[64:65], v[114:115]
	v_fma_f64 v[54:55], v[112:113], s[14:15], v[8:9]
	v_fma_f64 v[8:9], v[112:113], s[16:17], v[8:9]
	v_add_f64 v[52:53], v[52:53], v[110:111]
	v_add_f64 v[110:111], v[62:63], -v[110:111]
	v_add_f64 v[112:113], v[72:73], -v[70:71]
	v_fma_f64 v[54:55], v[58:59], s[12:13], v[54:55]
	v_fma_f64 v[8:9], v[58:59], s[18:19], v[8:9]
	v_add_f64 v[58:59], v[68:69], v[70:71]
	v_add_f64 v[80:81], v[80:81], v[112:113]
	v_add_f64 v[112:113], v[84:85], -v[86:87]
	v_fma_f64 v[64:65], v[114:115], s[2:3], v[54:55]
	v_add_f64 v[54:55], v[10:11], v[66:67]
	v_fma_f64 v[58:59], v[58:59], -0.5, v[10:11]
	v_fma_f64 v[8:9], v[114:115], s[2:3], v[8:9]
	v_add_f64 v[114:115], v[98:99], -v[100:101]
	v_add_f64 v[54:55], v[54:55], v[68:69]
	v_fma_f64 v[62:63], v[110:111], s[14:15], v[58:59]
	v_fma_f64 v[58:59], v[110:111], s[16:17], v[58:59]
	v_add_f64 v[54:55], v[54:55], v[70:71]
	v_fma_f64 v[62:63], v[76:77], s[18:19], v[62:63]
	v_fma_f64 v[58:59], v[76:77], s[12:13], v[58:59]
	;; [unrolled: 3-line block ×3, first 2 shown]
	v_add_f64 v[80:81], v[66:67], v[72:73]
	v_add_f64 v[66:67], v[68:69], -v[66:67]
	v_add_f64 v[68:69], v[70:71], -v[72:73]
	v_add_f64 v[70:71], v[78:79], v[98:99]
	v_fma_f64 v[10:11], v[80:81], -0.5, v[10:11]
	v_add_f64 v[68:69], v[66:67], v[68:69]
	v_fma_f64 v[70:71], v[70:71], -0.5, v[4:5]
	v_fma_f64 v[80:81], v[76:77], s[16:17], v[10:11]
	v_fma_f64 v[10:11], v[76:77], s[14:15], v[10:11]
	v_add_f64 v[76:77], v[74:75], -v[78:79]
	v_fma_f64 v[80:81], v[110:111], s[18:19], v[80:81]
	v_fma_f64 v[10:11], v[110:111], s[12:13], v[10:11]
	v_add_f64 v[110:111], v[82:83], -v[88:89]
	v_fma_f64 v[66:67], v[68:69], s[2:3], v[80:81]
	v_add_f64 v[80:81], v[100:101], -v[98:99]
	v_fma_f64 v[72:73], v[110:111], s[16:17], v[70:71]
	v_fma_f64 v[70:71], v[110:111], s[14:15], v[70:71]
	;; [unrolled: 1-line block ×3, first 2 shown]
	v_add_f64 v[68:69], v[4:5], v[74:75]
	ds_write_b128 v12, v[52:55] offset:10400
	ds_write_b128 v12, v[60:63] offset:11440
	;; [unrolled: 1-line block ×4, first 2 shown]
	v_fma_f64 v[72:73], v[112:113], s[12:13], v[72:73]
	v_add_f64 v[80:81], v[76:77], v[80:81]
	v_fma_f64 v[70:71], v[112:113], s[18:19], v[70:71]
	v_add_f64 v[68:69], v[68:69], v[78:79]
	v_lshl_add_u32 v8, v156, 4, v194
	buffer_store_dword v12, off, s[52:55], 0 offset:524 ; 4-byte Folded Spill
	ds_write_b128 v12, v[56:59] offset:14560
	v_fma_f64 v[76:77], v[80:81], s[2:3], v[72:73]
	v_fma_f64 v[72:73], v[80:81], s[2:3], v[70:71]
	v_add_f64 v[70:71], v[74:75], v[100:101]
	v_add_f64 v[68:69], v[68:69], v[98:99]
	v_add_f64 v[80:81], v[78:79], -v[74:75]
	v_add_f64 v[98:99], v[78:79], -v[98:99]
	;; [unrolled: 1-line block ×3, first 2 shown]
	v_fma_f64 v[4:5], v[70:71], -0.5, v[4:5]
	v_add_f64 v[68:69], v[68:69], v[100:101]
	v_add_f64 v[100:101], v[74:75], -v[100:101]
	v_add_f64 v[114:115], v[80:81], v[114:115]
	v_fma_f64 v[70:71], v[112:113], s[14:15], v[4:5]
	v_fma_f64 v[4:5], v[112:113], s[16:17], v[4:5]
	v_add_f64 v[112:113], v[88:89], -v[86:87]
	v_fma_f64 v[70:71], v[110:111], s[12:13], v[70:71]
	v_fma_f64 v[4:5], v[110:111], s[18:19], v[4:5]
	v_add_f64 v[110:111], v[84:85], v[86:87]
	v_add_f64 v[112:113], v[78:79], v[112:113]
	v_fma_f64 v[80:81], v[114:115], s[2:3], v[70:71]
	v_add_f64 v[70:71], v[6:7], v[82:83]
	v_fma_f64 v[110:111], v[110:111], -0.5, v[6:7]
	v_fma_f64 v[4:5], v[114:115], s[2:3], v[4:5]
	v_add_f64 v[114:115], v[106:107], -v[108:109]
	v_add_f64 v[70:71], v[70:71], v[84:85]
	v_fma_f64 v[74:75], v[100:101], s[14:15], v[110:111]
	v_add_f64 v[70:71], v[70:71], v[86:87]
	v_fma_f64 v[74:75], v[98:99], s[18:19], v[74:75]
	;; [unrolled: 2-line block ×3, first 2 shown]
	v_fma_f64 v[74:75], v[100:101], s[16:17], v[110:111]
	v_add_f64 v[110:111], v[82:83], v[88:89]
	v_add_f64 v[82:83], v[84:85], -v[82:83]
	v_add_f64 v[84:85], v[86:87], -v[88:89]
	v_add_f64 v[86:87], v[104:105], v[106:107]
	v_add_f64 v[88:89], v[90:91], -v[96:97]
	v_fma_f64 v[74:75], v[98:99], s[12:13], v[74:75]
	v_fma_f64 v[6:7], v[110:111], -0.5, v[6:7]
	v_add_f64 v[84:85], v[82:83], v[84:85]
	v_fma_f64 v[86:87], v[86:87], -0.5, v[0:1]
	v_fma_f64 v[74:75], v[112:113], s[2:3], v[74:75]
	v_fma_f64 v[110:111], v[98:99], s[16:17], v[6:7]
	v_fma_f64 v[6:7], v[98:99], s[14:15], v[6:7]
	v_add_f64 v[112:113], v[108:109], -v[106:107]
	v_fma_f64 v[98:99], v[88:89], s[16:17], v[86:87]
	v_fma_f64 v[86:87], v[88:89], s[14:15], v[86:87]
	;; [unrolled: 1-line block ×4, first 2 shown]
	v_add_f64 v[100:101], v[92:93], -v[94:95]
	v_fma_f64 v[82:83], v[84:85], s[2:3], v[110:111]
	v_add_f64 v[110:111], v[102:103], -v[104:105]
	v_fma_f64 v[98:99], v[100:101], s[12:13], v[98:99]
	v_fma_f64 v[86:87], v[100:101], s[18:19], v[86:87]
	;; [unrolled: 1-line block ×3, first 2 shown]
	v_add_f64 v[84:85], v[0:1], v[102:103]
	ds_write_b128 v8, v[68:71] offset:15600
	ds_write_b128 v8, v[76:79] offset:16640
	;; [unrolled: 1-line block ×4, first 2 shown]
	v_add_f64 v[110:111], v[110:111], v[112:113]
	v_add_f64 v[112:113], v[104:105], -v[102:103]
	v_add_co_u32_e64 v76, s[0:1], s20, v135
	v_add_f64 v[84:85], v[84:85], v[104:105]
	v_add_f64 v[104:105], v[104:105], -v[106:107]
	v_addc_co_u32_e64 v77, s[0:1], 0, v154, s[0:1]
	v_fma_f64 v[98:99], v[110:111], s[2:3], v[98:99]
	v_fma_f64 v[110:111], v[110:111], s[2:3], v[86:87]
	v_add_f64 v[86:87], v[102:103], v[108:109]
	v_add_f64 v[112:113], v[112:113], v[114:115]
	;; [unrolled: 1-line block ×3, first 2 shown]
	v_add_f64 v[102:103], v[102:103], -v[108:109]
	v_add_f64 v[106:107], v[90:91], -v[92:93]
	v_add_co_u32_e64 v78, s[0:1], s5, v135
	v_lshl_add_u32 v4, v157, 4, v194
	v_fma_f64 v[86:87], v[86:87], -0.5, v[0:1]
	v_addc_co_u32_e64 v79, s[0:1], 0, v154, s[0:1]
	v_add_f64 v[84:85], v[84:85], v[108:109]
	v_add_f64 v[108:109], v[96:97], -v[94:95]
	buffer_store_dword v8, off, s[52:55], 0 offset:528 ; 4-byte Folded Spill
	ds_write_b128 v8, v[72:75] offset:19760
	v_fma_f64 v[0:1], v[100:101], s[14:15], v[86:87]
	v_fma_f64 v[86:87], v[100:101], s[16:17], v[86:87]
	v_add_f64 v[100:101], v[92:93], v[94:95]
	v_add_f64 v[106:107], v[106:107], v[108:109]
	v_fma_f64 v[0:1], v[88:89], s[12:13], v[0:1]
	v_fma_f64 v[86:87], v[88:89], s[18:19], v[86:87]
	;; [unrolled: 1-line block ×4, first 2 shown]
	v_fma_f64 v[112:113], v[100:101], -0.5, v[2:3]
	v_add_f64 v[86:87], v[2:3], v[90:91]
	v_fma_f64 v[100:101], v[102:103], s[14:15], v[112:113]
	v_fma_f64 v[108:109], v[102:103], s[16:17], v[112:113]
	v_add_f64 v[86:87], v[86:87], v[92:93]
	v_fma_f64 v[100:101], v[104:105], s[18:19], v[100:101]
	v_fma_f64 v[108:109], v[104:105], s[12:13], v[108:109]
	;; [unrolled: 3-line block ×3, first 2 shown]
	v_add_f64 v[106:107], v[90:91], v[96:97]
	v_add_f64 v[90:91], v[92:93], -v[90:91]
	v_add_f64 v[92:93], v[94:95], -v[96:97]
	v_add_f64 v[86:87], v[86:87], v[96:97]
	v_fma_f64 v[106:107], v[106:107], -0.5, v[2:3]
	v_add_f64 v[90:91], v[90:91], v[92:93]
	v_fma_f64 v[2:3], v[104:105], s[16:17], v[106:107]
	v_fma_f64 v[92:93], v[104:105], s[14:15], v[106:107]
	;; [unrolled: 1-line block ×6, first 2 shown]
	ds_write_b128 v4, v[84:87] offset:20800
	ds_write_b128 v4, v[98:101] offset:21840
	;; [unrolled: 1-line block ×4, first 2 shown]
	buffer_store_dword v4, off, s[52:55], 0 offset:532 ; 4-byte Folded Spill
	ds_write_b128 v4, v[110:113] offset:24960
	s_waitcnt vmcnt(0) lgkmcnt(0)
	s_barrier
	ds_read_b128 v[32:35], v174
	ds_read_b128 v[68:71], v174 offset:5200
	ds_read_b128 v[72:75], v174 offset:10400
	;; [unrolled: 1-line block ×24, first 2 shown]
	global_load_dwordx4 v[80:83], v[78:79], off offset:896
	global_load_dwordx4 v[114:117], v[76:77], off offset:48
	;; [unrolled: 1-line block ×4, first 2 shown]
	s_waitcnt vmcnt(3) lgkmcnt(14)
	v_mul_f64 v[76:77], v[70:71], v[82:83]
	v_fma_f64 v[78:79], v[68:69], v[80:81], -v[76:77]
	v_mul_f64 v[68:69], v[68:69], v[82:83]
	buffer_store_dword v80, off, s[52:55], 0 offset:568 ; 4-byte Folded Spill
	s_nop 0
	buffer_store_dword v81, off, s[52:55], 0 offset:572 ; 4-byte Folded Spill
	buffer_store_dword v82, off, s[52:55], 0 offset:576 ; 4-byte Folded Spill
	buffer_store_dword v83, off, s[52:55], 0 offset:580 ; 4-byte Folded Spill
	v_fma_f64 v[86:87], v[70:71], v[80:81], v[68:69]
	s_waitcnt vmcnt(4)
	v_mul_f64 v[68:69], v[74:75], v[90:91]
	v_fma_f64 v[82:83], v[72:73], v[88:89], -v[68:69]
	v_mul_f64 v[68:69], v[72:73], v[90:91]
	buffer_store_dword v88, off, s[52:55], 0 offset:584 ; 4-byte Folded Spill
	s_nop 0
	buffer_store_dword v89, off, s[52:55], 0 offset:588 ; 4-byte Folded Spill
	buffer_store_dword v90, off, s[52:55], 0 offset:592 ; 4-byte Folded Spill
	buffer_store_dword v91, off, s[52:55], 0 offset:596 ; 4-byte Folded Spill
	v_fma_f64 v[90:91], v[74:75], v[88:89], v[68:69]
	v_mul_f64 v[68:69], v[94:95], v[100:101]
	v_fma_f64 v[96:97], v[92:93], v[98:99], -v[68:69]
	v_mul_f64 v[68:69], v[92:93], v[100:101]
	buffer_store_dword v98, off, s[52:55], 0 offset:552 ; 4-byte Folded Spill
	s_nop 0
	buffer_store_dword v99, off, s[52:55], 0 offset:556 ; 4-byte Folded Spill
	buffer_store_dword v100, off, s[52:55], 0 offset:560 ; 4-byte Folded Spill
	buffer_store_dword v101, off, s[52:55], 0 offset:564 ; 4-byte Folded Spill
	v_fma_f64 v[92:93], v[94:95], v[98:99], v[68:69]
	;; [unrolled: 9-line block ×3, first 2 shown]
	v_lshlrev_b32_e32 v68, 6, v158
	v_add_co_u32_e64 v70, s[0:1], s4, v68
	v_addc_co_u32_e64 v71, s[0:1], 0, v134, s[0:1]
	v_add_co_u32_e64 v68, s[0:1], s20, v70
	v_addc_co_u32_e64 v69, s[0:1], 0, v71, s[0:1]
	;; [unrolled: 2-line block ×3, first 2 shown]
	global_load_dwordx4 v[102:105], v[70:71], off offset:896
	s_nop 0
	global_load_dwordx4 v[70:73], v[68:69], off offset:48
	global_load_dwordx4 v[74:77], v[68:69], off offset:32
	;; [unrolled: 1-line block ×3, first 2 shown]
	s_waitcnt vmcnt(3)
	v_mul_f64 v[68:69], v[108:109], v[104:105]
	v_fma_f64 v[98:99], v[106:107], v[102:103], -v[68:69]
	v_mul_f64 v[68:69], v[106:107], v[104:105]
	buffer_store_dword v102, off, s[52:55], 0 offset:632 ; 4-byte Folded Spill
	s_nop 0
	buffer_store_dword v103, off, s[52:55], 0 offset:636 ; 4-byte Folded Spill
	buffer_store_dword v104, off, s[52:55], 0 offset:640 ; 4-byte Folded Spill
	;; [unrolled: 1-line block ×3, first 2 shown]
	v_fma_f64 v[106:107], v[108:109], v[102:103], v[68:69]
	s_waitcnt vmcnt(4)
	v_mul_f64 v[68:69], v[112:113], v[116:117]
	v_fma_f64 v[102:103], v[110:111], v[114:115], -v[68:69]
	v_mul_f64 v[68:69], v[110:111], v[116:117]
	buffer_store_dword v114, off, s[52:55], 0 offset:648 ; 4-byte Folded Spill
	s_nop 0
	buffer_store_dword v115, off, s[52:55], 0 offset:652 ; 4-byte Folded Spill
	buffer_store_dword v116, off, s[52:55], 0 offset:656 ; 4-byte Folded Spill
	buffer_store_dword v117, off, s[52:55], 0 offset:660 ; 4-byte Folded Spill
	v_fma_f64 v[110:111], v[112:113], v[114:115], v[68:69]
	v_mul_f64 v[68:69], v[120:121], v[76:77]
	v_fma_f64 v[116:117], v[118:119], v[74:75], -v[68:69]
	v_mul_f64 v[68:69], v[118:119], v[76:77]
	buffer_store_dword v74, off, s[52:55], 0 offset:616 ; 4-byte Folded Spill
	s_nop 0
	buffer_store_dword v75, off, s[52:55], 0 offset:620 ; 4-byte Folded Spill
	buffer_store_dword v76, off, s[52:55], 0 offset:624 ; 4-byte Folded Spill
	buffer_store_dword v77, off, s[52:55], 0 offset:628 ; 4-byte Folded Spill
	v_fma_f64 v[112:113], v[120:121], v[74:75], v[68:69]
	;; [unrolled: 9-line block ×3, first 2 shown]
	v_lshlrev_b32_e32 v68, 6, v153
	v_add_co_u32_e64 v70, s[0:1], s4, v68
	v_addc_co_u32_e64 v71, s[0:1], 0, v134, s[0:1]
	v_add_co_u32_e64 v68, s[0:1], s20, v70
	v_addc_co_u32_e64 v69, s[0:1], 0, v71, s[0:1]
	;; [unrolled: 2-line block ×3, first 2 shown]
	global_load_dwordx4 v[122:125], v[70:71], off offset:896
	s_nop 0
	global_load_dwordx4 v[70:73], v[68:69], off offset:48
	global_load_dwordx4 v[74:77], v[68:69], off offset:32
	;; [unrolled: 1-line block ×3, first 2 shown]
	s_waitcnt vmcnt(3) lgkmcnt(13)
	v_mul_f64 v[68:69], v[62:63], v[124:125]
	v_fma_f64 v[118:119], v[60:61], v[122:123], -v[68:69]
	v_mul_f64 v[60:61], v[60:61], v[124:125]
	buffer_store_dword v122, off, s[52:55], 0 offset:696 ; 4-byte Folded Spill
	s_nop 0
	buffer_store_dword v123, off, s[52:55], 0 offset:700 ; 4-byte Folded Spill
	buffer_store_dword v124, off, s[52:55], 0 offset:704 ; 4-byte Folded Spill
	;; [unrolled: 1-line block ×3, first 2 shown]
	v_fma_f64 v[122:123], v[62:63], v[122:123], v[60:61]
	s_waitcnt vmcnt(4) lgkmcnt(12)
	v_mul_f64 v[60:61], v[58:59], v[132:133]
	v_fma_f64 v[168:169], v[56:57], v[130:131], -v[60:61]
	v_mul_f64 v[56:57], v[56:57], v[132:133]
	buffer_store_dword v130, off, s[52:55], 0 offset:712 ; 4-byte Folded Spill
	s_nop 0
	buffer_store_dword v131, off, s[52:55], 0 offset:716 ; 4-byte Folded Spill
	buffer_store_dword v132, off, s[52:55], 0 offset:720 ; 4-byte Folded Spill
	;; [unrolled: 1-line block ×3, first 2 shown]
	v_fma_f64 v[158:159], v[58:59], v[130:131], v[56:57]
	s_waitcnt lgkmcnt(11)
	v_mul_f64 v[56:57], v[6:7], v[76:77]
	v_fma_f64 v[170:171], v[4:5], v[74:75], -v[56:57]
	v_mul_f64 v[4:5], v[4:5], v[76:77]
	buffer_store_dword v74, off, s[52:55], 0 offset:680 ; 4-byte Folded Spill
	s_nop 0
	buffer_store_dword v75, off, s[52:55], 0 offset:684 ; 4-byte Folded Spill
	buffer_store_dword v76, off, s[52:55], 0 offset:688 ; 4-byte Folded Spill
	;; [unrolled: 1-line block ×3, first 2 shown]
	v_fma_f64 v[162:163], v[6:7], v[74:75], v[4:5]
	s_waitcnt lgkmcnt(10)
	v_mul_f64 v[4:5], v[2:3], v[72:73]
	v_fma_f64 v[172:173], v[0:1], v[70:71], -v[4:5]
	v_mul_f64 v[0:1], v[0:1], v[72:73]
	buffer_store_dword v70, off, s[52:55], 0 offset:664 ; 4-byte Folded Spill
	s_nop 0
	buffer_store_dword v71, off, s[52:55], 0 offset:668 ; 4-byte Folded Spill
	buffer_store_dword v72, off, s[52:55], 0 offset:672 ; 4-byte Folded Spill
	;; [unrolled: 1-line block ×3, first 2 shown]
	v_fma_f64 v[166:167], v[2:3], v[70:71], v[0:1]
	v_lshlrev_b32_e32 v0, 6, v152
	v_add_co_u32_e64 v2, s[0:1], s4, v0
	v_addc_co_u32_e64 v3, s[0:1], 0, v134, s[0:1]
	v_add_co_u32_e64 v0, s[0:1], s20, v2
	v_addc_co_u32_e64 v1, s[0:1], 0, v3, s[0:1]
	;; [unrolled: 2-line block ×3, first 2 shown]
	global_load_dwordx4 v[72:75], v[2:3], off offset:896
	s_nop 0
	global_load_dwordx4 v[2:5], v[0:1], off offset:48
	global_load_dwordx4 v[68:71], v[0:1], off offset:32
	;; [unrolled: 1-line block ×3, first 2 shown]
	s_waitcnt vmcnt(3) lgkmcnt(8)
	v_mul_f64 v[56:57], v[22:23], v[74:75]
	v_fma_f64 v[154:155], v[20:21], v[72:73], -v[56:57]
	v_mul_f64 v[20:21], v[20:21], v[74:75]
	buffer_store_dword v72, off, s[52:55], 0 offset:776 ; 4-byte Folded Spill
	s_nop 0
	buffer_store_dword v73, off, s[52:55], 0 offset:780 ; 4-byte Folded Spill
	buffer_store_dword v74, off, s[52:55], 0 offset:784 ; 4-byte Folded Spill
	;; [unrolled: 1-line block ×3, first 2 shown]
	v_fma_f64 v[56:57], v[22:23], v[72:73], v[20:21]
	s_waitcnt vmcnt(4) lgkmcnt(7)
	v_mul_f64 v[20:21], v[18:19], v[60:61]
	v_fma_f64 v[156:157], v[16:17], v[58:59], -v[20:21]
	v_mul_f64 v[16:17], v[16:17], v[60:61]
	buffer_store_dword v58, off, s[52:55], 0 offset:760 ; 4-byte Folded Spill
	s_nop 0
	buffer_store_dword v59, off, s[52:55], 0 offset:764 ; 4-byte Folded Spill
	buffer_store_dword v60, off, s[52:55], 0 offset:768 ; 4-byte Folded Spill
	buffer_store_dword v61, off, s[52:55], 0 offset:772 ; 4-byte Folded Spill
	v_fma_f64 v[60:61], v[18:19], v[58:59], v[16:17]
	s_waitcnt lgkmcnt(6)
	v_mul_f64 v[16:17], v[14:15], v[70:71]
	v_fma_f64 v[160:161], v[12:13], v[68:69], -v[16:17]
	v_mul_f64 v[12:13], v[12:13], v[70:71]
	buffer_store_dword v68, off, s[52:55], 0 offset:744 ; 4-byte Folded Spill
	s_nop 0
	buffer_store_dword v69, off, s[52:55], 0 offset:748 ; 4-byte Folded Spill
	buffer_store_dword v70, off, s[52:55], 0 offset:752 ; 4-byte Folded Spill
	;; [unrolled: 1-line block ×3, first 2 shown]
	v_fma_f64 v[68:69], v[14:15], v[68:69], v[12:13]
	s_waitcnt lgkmcnt(5)
	v_mul_f64 v[12:13], v[10:11], v[4:5]
	v_fma_f64 v[164:165], v[8:9], v[2:3], -v[12:13]
	v_mul_f64 v[8:9], v[8:9], v[4:5]
	buffer_store_dword v2, off, s[52:55], 0 offset:728 ; 4-byte Folded Spill
	s_nop 0
	buffer_store_dword v3, off, s[52:55], 0 offset:732 ; 4-byte Folded Spill
	buffer_store_dword v4, off, s[52:55], 0 offset:736 ; 4-byte Folded Spill
	buffer_store_dword v5, off, s[52:55], 0 offset:740 ; 4-byte Folded Spill
	v_fma_f64 v[152:153], v[10:11], v[2:3], v[8:9]
	v_lshlrev_b32_e32 v8, 6, v177
	v_add_co_u32_e64 v8, s[0:1], s4, v8
	v_addc_co_u32_e64 v9, s[0:1], 0, v134, s[0:1]
	v_add_co_u32_e64 v16, s[0:1], s20, v8
	v_addc_co_u32_e64 v17, s[0:1], 0, v9, s[0:1]
	;; [unrolled: 2-line block ×3, first 2 shown]
	global_load_dwordx4 v[20:23], v[8:9], off offset:896
	global_load_dwordx4 v[0:3], v[16:17], off offset:48
	global_load_dwordx4 v[4:7], v[16:17], off offset:32
	s_nop 0
	global_load_dwordx4 v[16:19], v[16:17], off offset:16
	s_movk_i32 s0, 0x6590
	s_movk_i32 s4, 0x6000
	s_waitcnt vmcnt(3) lgkmcnt(3)
	v_mul_f64 v[58:59], v[54:55], v[22:23]
	v_fma_f64 v[58:59], v[52:53], v[20:21], -v[58:59]
	v_mul_f64 v[52:53], v[52:53], v[22:23]
	v_fma_f64 v[70:71], v[54:55], v[20:21], v[52:53]
	s_waitcnt vmcnt(0) lgkmcnt(2)
	v_mul_f64 v[52:53], v[50:51], v[18:19]
	v_add_f64 v[54:55], v[56:57], -v[60:61]
	v_fma_f64 v[62:63], v[48:49], v[16:17], -v[52:53]
	v_mul_f64 v[48:49], v[48:49], v[18:19]
	v_add_f64 v[52:53], v[156:157], -v[160:161]
	v_fma_f64 v[124:125], v[50:51], v[16:17], v[48:49]
	s_waitcnt lgkmcnt(1)
	v_mul_f64 v[48:49], v[42:43], v[6:7]
	v_add_f64 v[50:51], v[100:101], -v[96:97]
	v_fma_f64 v[132:133], v[40:41], v[4:5], -v[48:49]
	v_mul_f64 v[40:41], v[40:41], v[6:7]
	buffer_store_dword v4, off, s[52:55], 0 offset:808 ; 4-byte Folded Spill
	s_nop 0
	buffer_store_dword v5, off, s[52:55], 0 offset:812 ; 4-byte Folded Spill
	buffer_store_dword v6, off, s[52:55], 0 offset:816 ; 4-byte Folded Spill
	;; [unrolled: 1-line block ×3, first 2 shown]
	v_add_f64 v[48:49], v[78:79], -v[82:83]
	v_add_f64 v[48:49], v[48:49], v[50:51]
	v_add_f64 v[50:51], v[160:161], -v[164:165]
	v_fma_f64 v[126:127], v[42:43], v[4:5], v[40:41]
	s_waitcnt lgkmcnt(0)
	v_mul_f64 v[40:41], v[38:39], v[2:3]
	v_add_f64 v[42:43], v[90:91], -v[92:93]
	v_fma_f64 v[134:135], v[36:37], v[0:1], -v[40:41]
	v_mul_f64 v[36:37], v[36:37], v[2:3]
	buffer_store_dword v0, off, s[52:55], 0 offset:792 ; 4-byte Folded Spill
	s_nop 0
	buffer_store_dword v1, off, s[52:55], 0 offset:796 ; 4-byte Folded Spill
	buffer_store_dword v2, off, s[52:55], 0 offset:800 ; 4-byte Folded Spill
	;; [unrolled: 1-line block ×3, first 2 shown]
	v_fma_f64 v[130:131], v[38:39], v[0:1], v[36:37]
	v_add_f64 v[36:37], v[32:33], v[78:79]
	v_add_f64 v[38:39], v[86:87], -v[94:95]
	v_add_f64 v[36:37], v[36:37], v[82:83]
	v_add_f64 v[36:37], v[36:37], v[96:97]
	;; [unrolled: 1-line block ×4, first 2 shown]
	v_fma_f64 v[36:37], v[36:37], -0.5, v[32:33]
	v_fma_f64 v[40:41], v[38:39], s[16:17], v[36:37]
	v_fma_f64 v[36:37], v[38:39], s[14:15], v[36:37]
	;; [unrolled: 1-line block ×6, first 2 shown]
	v_add_f64 v[36:37], v[78:79], v[100:101]
	v_add_f64 v[40:41], v[82:83], -v[78:79]
	v_add_f64 v[48:49], v[96:97], -v[100:101]
	v_fma_f64 v[32:33], v[36:37], -0.5, v[32:33]
	v_add_f64 v[40:41], v[40:41], v[48:49]
	v_add_f64 v[48:49], v[94:95], -v[92:93]
	v_fma_f64 v[36:37], v[42:43], s[14:15], v[32:33]
	v_fma_f64 v[32:33], v[42:43], s[16:17], v[32:33]
	v_add_f64 v[42:43], v[86:87], -v[90:91]
	v_fma_f64 v[36:37], v[38:39], s[12:13], v[36:37]
	v_fma_f64 v[32:33], v[38:39], s[18:19], v[32:33]
	v_add_f64 v[42:43], v[42:43], v[48:49]
	v_add_f64 v[48:49], v[164:165], -v[160:161]
	v_fma_f64 v[88:89], v[40:41], s[2:3], v[36:37]
	v_fma_f64 v[84:85], v[40:41], s[2:3], v[32:33]
	v_add_f64 v[32:33], v[34:35], v[86:87]
	v_add_f64 v[36:37], v[78:79], -v[100:101]
	v_add_f64 v[40:41], v[82:83], -v[96:97]
	v_add_f64 v[32:33], v[32:33], v[90:91]
	v_add_f64 v[32:33], v[32:33], v[92:93]
	;; [unrolled: 1-line block ×4, first 2 shown]
	ds_write_b128 v174, v[72:75]
	v_fma_f64 v[32:33], v[32:33], -0.5, v[34:35]
	v_add_co_u32_e64 v72, s[0:1], s0, v128
	v_addc_co_u32_e64 v73, s[0:1], 0, v176, s[0:1]
	v_fma_f64 v[38:39], v[36:37], s[14:15], v[32:33]
	v_fma_f64 v[32:33], v[36:37], s[16:17], v[32:33]
	v_fma_f64 v[38:39], v[40:41], s[18:19], v[38:39]
	v_fma_f64 v[32:33], v[40:41], s[12:13], v[32:33]
	v_fma_f64 v[82:83], v[42:43], s[2:3], v[38:39]
	v_fma_f64 v[78:79], v[42:43], s[2:3], v[32:33]
	v_add_f64 v[32:33], v[86:87], v[94:95]
	v_add_f64 v[38:39], v[90:91], -v[86:87]
	v_add_f64 v[42:43], v[92:93], -v[94:95]
	v_fma_f64 v[32:33], v[32:33], -0.5, v[34:35]
	v_add_f64 v[38:39], v[38:39], v[42:43]
	v_add_f64 v[42:43], v[120:121], -v[116:117]
	v_fma_f64 v[34:35], v[40:41], s[16:17], v[32:33]
	v_fma_f64 v[32:33], v[40:41], s[14:15], v[32:33]
	v_add_f64 v[40:41], v[98:99], -v[102:103]
	v_fma_f64 v[34:35], v[36:37], s[18:19], v[34:35]
	v_fma_f64 v[32:33], v[36:37], s[12:13], v[32:33]
	v_add_f64 v[40:41], v[40:41], v[42:43]
	v_add_f64 v[42:43], v[60:61], -v[68:69]
	v_fma_f64 v[90:91], v[38:39], s[2:3], v[34:35]
	v_fma_f64 v[86:87], v[38:39], s[2:3], v[32:33]
	v_add_f64 v[32:33], v[28:29], v[98:99]
	v_add_f64 v[34:35], v[106:107], -v[114:115]
	v_add_f64 v[38:39], v[110:111], -v[112:113]
	v_add_f64 v[32:33], v[32:33], v[102:103]
	v_add_f64 v[32:33], v[32:33], v[116:117]
	v_add_f64 v[92:93], v[32:33], v[120:121]
	v_add_f64 v[32:33], v[102:103], v[116:117]
	v_fma_f64 v[32:33], v[32:33], -0.5, v[28:29]
	v_fma_f64 v[36:37], v[34:35], s[16:17], v[32:33]
	v_fma_f64 v[32:33], v[34:35], s[14:15], v[32:33]
	v_fma_f64 v[36:37], v[38:39], s[12:13], v[36:37]
	v_fma_f64 v[32:33], v[38:39], s[18:19], v[32:33]
	v_fma_f64 v[100:101], v[40:41], s[2:3], v[36:37]
	v_fma_f64 v[96:97], v[40:41], s[2:3], v[32:33]
	v_add_f64 v[32:33], v[98:99], v[120:121]
	v_add_f64 v[36:37], v[102:103], -v[98:99]
	v_add_f64 v[40:41], v[116:117], -v[120:121]
	v_fma_f64 v[28:29], v[32:33], -0.5, v[28:29]
	v_add_f64 v[36:37], v[36:37], v[40:41]
	v_add_f64 v[40:41], v[114:115], -v[112:113]
	v_fma_f64 v[32:33], v[38:39], s[14:15], v[28:29]
	v_fma_f64 v[28:29], v[38:39], s[16:17], v[28:29]
	v_add_f64 v[38:39], v[106:107], -v[110:111]
	v_fma_f64 v[32:33], v[34:35], s[12:13], v[32:33]
	v_fma_f64 v[28:29], v[34:35], s[18:19], v[28:29]
	v_add_f64 v[38:39], v[38:39], v[40:41]
	v_add_f64 v[40:41], v[166:167], -v[162:163]
	v_fma_f64 v[108:109], v[36:37], s[2:3], v[32:33]
	v_fma_f64 v[104:105], v[36:37], s[2:3], v[28:29]
	v_add_f64 v[28:29], v[30:31], v[106:107]
	v_add_f64 v[32:33], v[98:99], -v[120:121]
	v_add_f64 v[36:37], v[102:103], -v[116:117]
	v_add_f64 v[28:29], v[28:29], v[110:111]
	v_add_f64 v[28:29], v[28:29], v[112:113]
	v_add_f64 v[94:95], v[28:29], v[114:115]
	v_add_f64 v[28:29], v[110:111], v[112:113]
	v_fma_f64 v[28:29], v[28:29], -0.5, v[30:31]
	;; [unrolled: 29-line block ×3, first 2 shown]
	v_fma_f64 v[32:33], v[30:31], s[16:17], v[28:29]
	v_fma_f64 v[28:29], v[30:31], s[14:15], v[28:29]
	;; [unrolled: 1-line block ×5, first 2 shown]
	v_add_f64 v[32:33], v[118:119], v[172:173]
	v_fma_f64 v[28:29], v[36:37], s[2:3], v[28:29]
	v_add_f64 v[36:37], v[168:169], -v[118:119]
	v_fma_f64 v[24:25], v[32:33], -0.5, v[24:25]
	v_add_f64 v[36:37], v[36:37], v[38:39]
	v_add_f64 v[38:39], v[122:123], -v[158:159]
	v_fma_f64 v[32:33], v[34:35], s[14:15], v[24:25]
	v_fma_f64 v[24:25], v[34:35], s[16:17], v[24:25]
	v_add_f64 v[38:39], v[38:39], v[40:41]
	v_add_f64 v[40:41], v[162:163], -v[166:167]
	v_fma_f64 v[32:33], v[30:31], s[12:13], v[32:33]
	v_fma_f64 v[24:25], v[30:31], s[18:19], v[24:25]
	v_add_f64 v[30:31], v[26:27], v[122:123]
	v_fma_f64 v[120:121], v[36:37], s[2:3], v[32:33]
	v_add_f64 v[32:33], v[118:119], -v[172:173]
	v_add_f64 v[30:31], v[30:31], v[158:159]
	v_fma_f64 v[24:25], v[36:37], s[2:3], v[24:25]
	v_add_f64 v[36:37], v[168:169], -v[170:171]
	v_add_f64 v[30:31], v[30:31], v[162:163]
	v_add_f64 v[114:115], v[30:31], v[166:167]
	;; [unrolled: 1-line block ×3, first 2 shown]
	v_fma_f64 v[30:31], v[30:31], -0.5, v[26:27]
	v_fma_f64 v[34:35], v[32:33], s[14:15], v[30:31]
	v_fma_f64 v[30:31], v[32:33], s[16:17], v[30:31]
	;; [unrolled: 1-line block ×5, first 2 shown]
	v_add_f64 v[34:35], v[122:123], v[166:167]
	v_fma_f64 v[30:31], v[38:39], s[2:3], v[30:31]
	v_add_f64 v[38:39], v[158:159], -v[122:123]
	v_fma_f64 v[26:27], v[34:35], -0.5, v[26:27]
	v_add_f64 v[38:39], v[38:39], v[40:41]
	v_add_f64 v[40:41], v[154:155], -v[156:157]
	v_fma_f64 v[34:35], v[36:37], s[16:17], v[26:27]
	v_fma_f64 v[26:27], v[36:37], s[14:15], v[26:27]
	v_add_f64 v[40:41], v[40:41], v[48:49]
	v_add_f64 v[48:49], v[156:157], -v[154:155]
	v_fma_f64 v[34:35], v[32:33], s[18:19], v[34:35]
	v_fma_f64 v[26:27], v[32:33], s[12:13], v[26:27]
	v_add_f64 v[32:33], v[44:45], v[154:155]
	v_add_f64 v[48:49], v[48:49], v[50:51]
	v_add_f64 v[50:51], v[154:155], -v[164:165]
	v_fma_f64 v[122:123], v[38:39], s[2:3], v[34:35]
	v_add_f64 v[34:35], v[156:157], v[160:161]
	v_fma_f64 v[26:27], v[38:39], s[2:3], v[26:27]
	v_add_f64 v[38:39], v[56:57], -v[152:153]
	v_add_f64 v[32:33], v[32:33], v[156:157]
	v_add_f64 v[156:157], v[132:133], -v[134:135]
	v_fma_f64 v[34:35], v[34:35], -0.5, v[44:45]
	v_add_f64 v[32:33], v[32:33], v[160:161]
	v_fma_f64 v[36:37], v[38:39], s[16:17], v[34:35]
	v_fma_f64 v[34:35], v[38:39], s[14:15], v[34:35]
	v_add_f64 v[32:33], v[32:33], v[164:165]
	v_fma_f64 v[36:37], v[42:43], s[12:13], v[36:37]
	v_fma_f64 v[34:35], v[42:43], s[18:19], v[34:35]
	;; [unrolled: 1-line block ×4, first 2 shown]
	v_add_f64 v[34:35], v[154:155], v[164:165]
	v_add_f64 v[154:155], v[152:153], -v[68:69]
	v_fma_f64 v[34:35], v[34:35], -0.5, v[44:45]
	v_add_f64 v[54:55], v[54:55], v[154:155]
	v_add_f64 v[154:155], v[134:135], -v[132:133]
	v_fma_f64 v[44:45], v[42:43], s[14:15], v[34:35]
	v_fma_f64 v[34:35], v[42:43], s[16:17], v[34:35]
	v_fma_f64 v[44:45], v[38:39], s[12:13], v[44:45]
	v_fma_f64 v[34:35], v[38:39], s[18:19], v[34:35]
	v_add_f64 v[38:39], v[60:61], v[68:69]
	v_fma_f64 v[44:45], v[48:49], s[2:3], v[44:45]
	v_fma_f64 v[48:49], v[48:49], s[2:3], v[34:35]
	v_fma_f64 v[42:43], v[38:39], -0.5, v[46:47]
	v_add_f64 v[34:35], v[46:47], v[56:57]
	v_fma_f64 v[38:39], v[50:51], s[14:15], v[42:43]
	v_fma_f64 v[42:43], v[50:51], s[16:17], v[42:43]
	v_add_f64 v[34:35], v[34:35], v[60:61]
	v_fma_f64 v[38:39], v[52:53], s[18:19], v[38:39]
	v_fma_f64 v[42:43], v[52:53], s[12:13], v[42:43]
	;; [unrolled: 3-line block ×3, first 2 shown]
	v_add_f64 v[54:55], v[56:57], v[152:153]
	v_add_f64 v[56:57], v[60:61], -v[56:57]
	v_add_f64 v[60:61], v[68:69], -v[152:153]
	;; [unrolled: 1-line block ×3, first 2 shown]
	v_add_f64 v[34:35], v[34:35], v[152:153]
	v_add_f64 v[152:153], v[124:125], -v[126:127]
	v_fma_f64 v[54:55], v[54:55], -0.5, v[46:47]
	v_add_f64 v[56:57], v[56:57], v[60:61]
	v_add_f64 v[60:61], v[58:59], -v[62:63]
	v_fma_f64 v[46:47], v[52:53], s[16:17], v[54:55]
	v_fma_f64 v[52:53], v[52:53], s[14:15], v[54:55]
	v_add_f64 v[54:55], v[62:63], v[132:133]
	v_add_f64 v[60:61], v[60:61], v[154:155]
	v_add_f64 v[154:155], v[62:63], -v[58:59]
	v_fma_f64 v[46:47], v[50:51], s[18:19], v[46:47]
	v_fma_f64 v[50:51], v[50:51], s[12:13], v[52:53]
	v_fma_f64 v[54:55], v[54:55], -0.5, v[64:65]
	v_add_f64 v[52:53], v[64:65], v[58:59]
	v_add_f64 v[154:155], v[154:155], v[156:157]
	v_fma_f64 v[46:47], v[56:57], s[2:3], v[46:47]
	v_fma_f64 v[50:51], v[56:57], s[2:3], v[50:51]
	;; [unrolled: 1-line block ×4, first 2 shown]
	v_add_f64 v[52:53], v[52:53], v[62:63]
	v_fma_f64 v[56:57], v[152:153], s[12:13], v[56:57]
	v_fma_f64 v[54:55], v[152:153], s[18:19], v[54:55]
	v_add_f64 v[52:53], v[52:53], v[132:133]
	v_add_f64 v[132:133], v[62:63], -v[132:133]
	v_add_f64 v[62:63], v[70:71], -v[124:125]
	v_fma_f64 v[56:57], v[60:61], s[2:3], v[56:57]
	v_fma_f64 v[60:61], v[60:61], s[2:3], v[54:55]
	v_add_f64 v[54:55], v[58:59], v[134:135]
	v_add_f64 v[52:53], v[52:53], v[134:135]
	v_add_f64 v[134:135], v[58:59], -v[134:135]
	v_fma_f64 v[54:55], v[54:55], -0.5, v[64:65]
	v_fma_f64 v[64:65], v[152:153], s[14:15], v[54:55]
	v_fma_f64 v[54:55], v[152:153], s[16:17], v[54:55]
	v_add_f64 v[152:153], v[124:125], v[126:127]
	v_fma_f64 v[64:65], v[68:69], s[12:13], v[64:65]
	v_fma_f64 v[54:55], v[68:69], s[18:19], v[54:55]
	v_fma_f64 v[152:153], v[152:153], -0.5, v[66:67]
	v_fma_f64 v[64:65], v[154:155], s[2:3], v[64:65]
	v_fma_f64 v[68:69], v[154:155], s[2:3], v[54:55]
	;; [unrolled: 1-line block ×3, first 2 shown]
	v_add_f64 v[154:155], v[130:131], -v[126:127]
	v_fma_f64 v[152:153], v[134:135], s[16:17], v[152:153]
	v_add_f64 v[54:55], v[66:67], v[70:71]
	v_fma_f64 v[58:59], v[132:133], s[18:19], v[58:59]
	v_add_f64 v[62:63], v[62:63], v[154:155]
	;; [unrolled: 2-line block ×3, first 2 shown]
	v_fma_f64 v[58:59], v[62:63], s[2:3], v[58:59]
	v_fma_f64 v[62:63], v[62:63], s[2:3], v[152:153]
	v_add_f64 v[152:153], v[70:71], v[130:131]
	v_add_f64 v[70:71], v[124:125], -v[70:71]
	v_add_f64 v[124:125], v[126:127], -v[130:131]
	v_add_f64 v[54:55], v[54:55], v[126:127]
	v_fma_f64 v[152:153], v[152:153], -0.5, v[66:67]
	v_add_f64 v[70:71], v[70:71], v[124:125]
	v_add_f64 v[54:55], v[54:55], v[130:131]
	v_fma_f64 v[66:67], v[132:133], s[16:17], v[152:153]
	v_fma_f64 v[124:125], v[132:133], s[14:15], v[152:153]
	;; [unrolled: 1-line block ×4, first 2 shown]
	v_lshl_add_u32 v134, v178, 4, v194
	v_fma_f64 v[66:67], v[70:71], s[2:3], v[66:67]
	v_fma_f64 v[70:71], v[70:71], s[2:3], v[124:125]
	ds_write_b128 v134, v[80:83] offset:5200
	ds_write_b128 v134, v[88:91] offset:10400
	;; [unrolled: 1-line block ×24, first 2 shown]
	v_add_co_u32_e64 v78, s[0:1], s4, v128
	v_addc_co_u32_e64 v79, s[0:1], 0, v176, s[0:1]
	s_waitcnt vmcnt(0) lgkmcnt(0)
	s_barrier
	global_load_dwordx4 v[78:81], v[78:79], off offset:1424
	ds_read_b128 v[74:77], v174
	s_movk_i32 s0, 0x7000
	s_waitcnt vmcnt(0) lgkmcnt(0)
	v_mul_f64 v[82:83], v[76:77], v[80:81]
	v_fma_f64 v[82:83], v[74:75], v[78:79], -v[82:83]
	v_mul_f64 v[74:75], v[74:75], v[80:81]
	v_fma_f64 v[84:85], v[76:77], v[78:79], v[74:75]
	global_load_dwordx4 v[78:81], v[72:73], off offset:2000
	ds_read_b128 v[74:77], v174 offset:2000
	ds_write_b128 v174, v[82:85]
	s_waitcnt vmcnt(0) lgkmcnt(1)
	v_mul_f64 v[82:83], v[76:77], v[80:81]
	v_fma_f64 v[82:83], v[74:75], v[78:79], -v[82:83]
	v_mul_f64 v[74:75], v[74:75], v[80:81]
	v_fma_f64 v[84:85], v[76:77], v[78:79], v[74:75]
	global_load_dwordx4 v[78:81], v[72:73], off offset:4000
	ds_read_b128 v[74:77], v174 offset:4000
	ds_write_b128 v174, v[82:85] offset:2000
	s_waitcnt vmcnt(0) lgkmcnt(1)
	v_mul_f64 v[82:83], v[76:77], v[80:81]
	v_fma_f64 v[82:83], v[74:75], v[78:79], -v[82:83]
	v_mul_f64 v[74:75], v[74:75], v[80:81]
	v_fma_f64 v[84:85], v[76:77], v[78:79], v[74:75]
	v_add_co_u32_e64 v78, s[0:1], s0, v128
	v_addc_co_u32_e64 v79, s[0:1], 0, v176, s[0:1]
	global_load_dwordx4 v[78:81], v[78:79], off offset:3328
	ds_read_b128 v[74:77], v174 offset:6000
	s_mov_b32 s0, 0x8000
	ds_write_b128 v174, v[82:85] offset:4000
	v_add_co_u32_e64 v86, s[0:1], s0, v128
	v_addc_co_u32_e64 v87, s[0:1], 0, v176, s[0:1]
	s_mov_b32 s0, 0x9000
	s_waitcnt vmcnt(0) lgkmcnt(1)
	v_mul_f64 v[82:83], v[76:77], v[80:81]
	v_fma_f64 v[82:83], v[74:75], v[78:79], -v[82:83]
	v_mul_f64 v[74:75], v[74:75], v[80:81]
	v_fma_f64 v[84:85], v[76:77], v[78:79], v[74:75]
	global_load_dwordx4 v[78:81], v[86:87], off offset:1232
	ds_read_b128 v[74:77], v174 offset:8000
	ds_write_b128 v174, v[82:85] offset:6000
	s_waitcnt vmcnt(0) lgkmcnt(1)
	v_mul_f64 v[82:83], v[76:77], v[80:81]
	v_fma_f64 v[82:83], v[74:75], v[78:79], -v[82:83]
	v_mul_f64 v[74:75], v[74:75], v[80:81]
	v_fma_f64 v[84:85], v[76:77], v[78:79], v[74:75]
	global_load_dwordx4 v[78:81], v[86:87], off offset:3232
	ds_read_b128 v[74:77], v174 offset:10000
	v_add_co_u32_e64 v86, s[0:1], s0, v128
	v_addc_co_u32_e64 v87, s[0:1], 0, v176, s[0:1]
	s_mov_b32 s0, 0xa000
	ds_write_b128 v174, v[82:85] offset:8000
	s_waitcnt vmcnt(0) lgkmcnt(1)
	v_mul_f64 v[82:83], v[76:77], v[80:81]
	v_fma_f64 v[82:83], v[74:75], v[78:79], -v[82:83]
	v_mul_f64 v[74:75], v[74:75], v[80:81]
	v_fma_f64 v[84:85], v[76:77], v[78:79], v[74:75]
	global_load_dwordx4 v[78:81], v[86:87], off offset:1136
	ds_read_b128 v[74:77], v174 offset:12000
	ds_write_b128 v174, v[82:85] offset:10000
	s_waitcnt vmcnt(0) lgkmcnt(1)
	v_mul_f64 v[82:83], v[76:77], v[80:81]
	v_fma_f64 v[82:83], v[74:75], v[78:79], -v[82:83]
	v_mul_f64 v[74:75], v[74:75], v[80:81]
	v_fma_f64 v[84:85], v[76:77], v[78:79], v[74:75]
	global_load_dwordx4 v[78:81], v[86:87], off offset:3136
	ds_read_b128 v[74:77], v174 offset:14000
	v_add_co_u32_e64 v86, s[0:1], s0, v128
	v_addc_co_u32_e64 v87, s[0:1], 0, v176, s[0:1]
	s_mov_b32 s0, 0xb000
	ds_write_b128 v174, v[82:85] offset:12000
	s_waitcnt vmcnt(0) lgkmcnt(1)
	v_mul_f64 v[82:83], v[76:77], v[80:81]
	v_fma_f64 v[82:83], v[74:75], v[78:79], -v[82:83]
	v_mul_f64 v[74:75], v[74:75], v[80:81]
	v_fma_f64 v[84:85], v[76:77], v[78:79], v[74:75]
	global_load_dwordx4 v[78:81], v[86:87], off offset:1040
	ds_read_b128 v[74:77], v174 offset:16000
	ds_write_b128 v174, v[82:85] offset:14000
	s_waitcnt vmcnt(0) lgkmcnt(1)
	v_mul_f64 v[82:83], v[76:77], v[80:81]
	v_fma_f64 v[82:83], v[74:75], v[78:79], -v[82:83]
	v_mul_f64 v[74:75], v[74:75], v[80:81]
	v_fma_f64 v[84:85], v[76:77], v[78:79], v[74:75]
	global_load_dwordx4 v[78:81], v[86:87], off offset:3040
	ds_read_b128 v[74:77], v174 offset:18000
	v_add_co_u32_e64 v86, s[0:1], s0, v128
	v_addc_co_u32_e64 v87, s[0:1], 0, v176, s[0:1]
	s_mov_b32 s0, 0xc000
	ds_write_b128 v174, v[82:85] offset:16000
	s_waitcnt vmcnt(0) lgkmcnt(1)
	v_mul_f64 v[82:83], v[76:77], v[80:81]
	v_fma_f64 v[82:83], v[74:75], v[78:79], -v[82:83]
	v_mul_f64 v[74:75], v[74:75], v[80:81]
	v_fma_f64 v[84:85], v[76:77], v[78:79], v[74:75]
	global_load_dwordx4 v[78:81], v[86:87], off offset:944
	ds_read_b128 v[74:77], v174 offset:20000
	ds_write_b128 v174, v[82:85] offset:18000
	s_waitcnt vmcnt(0) lgkmcnt(1)
	v_mul_f64 v[82:83], v[76:77], v[80:81]
	v_fma_f64 v[82:83], v[74:75], v[78:79], -v[82:83]
	v_mul_f64 v[74:75], v[74:75], v[80:81]
	v_fma_f64 v[84:85], v[76:77], v[78:79], v[74:75]
	global_load_dwordx4 v[78:81], v[86:87], off offset:2944
	ds_read_b128 v[74:77], v174 offset:22000
	ds_write_b128 v174, v[82:85] offset:20000
	s_waitcnt vmcnt(0) lgkmcnt(1)
	v_mul_f64 v[82:83], v[76:77], v[80:81]
	v_fma_f64 v[82:83], v[74:75], v[78:79], -v[82:83]
	v_mul_f64 v[74:75], v[74:75], v[80:81]
	v_fma_f64 v[84:85], v[76:77], v[78:79], v[74:75]
	v_add_co_u32_e64 v78, s[0:1], s0, v128
	v_addc_co_u32_e64 v79, s[0:1], 0, v176, s[0:1]
	global_load_dwordx4 v[78:81], v[78:79], off offset:848
	ds_read_b128 v[74:77], v174 offset:24000
	ds_write_b128 v174, v[82:85] offset:22000
	s_waitcnt vmcnt(0) lgkmcnt(1)
	v_mul_f64 v[82:83], v[76:77], v[80:81]
	v_fma_f64 v[82:83], v[74:75], v[78:79], -v[82:83]
	v_mul_f64 v[74:75], v[74:75], v[80:81]
	v_fma_f64 v[84:85], v[76:77], v[78:79], v[74:75]
	ds_write_b128 v174, v[82:85] offset:24000
	s_and_saveexec_b64 s[2:3], vcc
	s_cbranch_execz .LBB0_9
; %bb.8:
	global_load_dwordx4 v[78:81], v[72:73], off offset:1040
	ds_read_b128 v[74:77], v134 offset:1040
	v_add_co_u32_e64 v86, s[0:1], s5, v72
	v_addc_co_u32_e64 v87, s[0:1], 0, v73, s[0:1]
	s_movk_i32 s0, 0x2000
	s_waitcnt vmcnt(0) lgkmcnt(0)
	v_mul_f64 v[82:83], v[76:77], v[80:81]
	v_fma_f64 v[82:83], v[74:75], v[78:79], -v[82:83]
	v_mul_f64 v[74:75], v[74:75], v[80:81]
	v_fma_f64 v[84:85], v[76:77], v[78:79], v[74:75]
	global_load_dwordx4 v[78:81], v[72:73], off offset:3040
	ds_read_b128 v[74:77], v134 offset:3040
	ds_write_b128 v134, v[82:85] offset:1040
	s_waitcnt vmcnt(0) lgkmcnt(1)
	v_mul_f64 v[82:83], v[76:77], v[80:81]
	v_fma_f64 v[82:83], v[74:75], v[78:79], -v[82:83]
	v_mul_f64 v[74:75], v[74:75], v[80:81]
	v_fma_f64 v[84:85], v[76:77], v[78:79], v[74:75]
	global_load_dwordx4 v[78:81], v[86:87], off offset:944
	ds_read_b128 v[74:77], v134 offset:5040
	ds_write_b128 v134, v[82:85] offset:3040
	s_waitcnt vmcnt(0) lgkmcnt(1)
	v_mul_f64 v[82:83], v[76:77], v[80:81]
	v_fma_f64 v[82:83], v[74:75], v[78:79], -v[82:83]
	v_mul_f64 v[74:75], v[74:75], v[80:81]
	v_fma_f64 v[84:85], v[76:77], v[78:79], v[74:75]
	global_load_dwordx4 v[78:81], v[86:87], off offset:2944
	ds_read_b128 v[74:77], v134 offset:7040
	v_add_co_u32_e64 v86, s[0:1], s0, v72
	v_addc_co_u32_e64 v87, s[0:1], 0, v73, s[0:1]
	s_movk_i32 s0, 0x3000
	ds_write_b128 v134, v[82:85] offset:5040
	s_waitcnt vmcnt(0) lgkmcnt(1)
	v_mul_f64 v[82:83], v[76:77], v[80:81]
	v_fma_f64 v[82:83], v[74:75], v[78:79], -v[82:83]
	v_mul_f64 v[74:75], v[74:75], v[80:81]
	v_fma_f64 v[84:85], v[76:77], v[78:79], v[74:75]
	global_load_dwordx4 v[78:81], v[86:87], off offset:848
	ds_read_b128 v[74:77], v134 offset:9040
	ds_write_b128 v134, v[82:85] offset:7040
	s_waitcnt vmcnt(0) lgkmcnt(1)
	v_mul_f64 v[82:83], v[76:77], v[80:81]
	v_fma_f64 v[82:83], v[74:75], v[78:79], -v[82:83]
	v_mul_f64 v[74:75], v[74:75], v[80:81]
	v_fma_f64 v[84:85], v[76:77], v[78:79], v[74:75]
	global_load_dwordx4 v[78:81], v[86:87], off offset:2848
	ds_read_b128 v[74:77], v134 offset:11040
	v_add_co_u32_e64 v86, s[0:1], s0, v72
	v_addc_co_u32_e64 v87, s[0:1], 0, v73, s[0:1]
	s_movk_i32 s0, 0x4000
	;; [unrolled: 19-line block ×3, first 2 shown]
	ds_write_b128 v134, v[82:85] offset:13040
	s_waitcnt vmcnt(0) lgkmcnt(1)
	v_mul_f64 v[82:83], v[76:77], v[80:81]
	v_fma_f64 v[82:83], v[74:75], v[78:79], -v[82:83]
	v_mul_f64 v[74:75], v[74:75], v[80:81]
	v_fma_f64 v[84:85], v[76:77], v[78:79], v[74:75]
	global_load_dwordx4 v[78:81], v[86:87], off offset:656
	ds_read_b128 v[74:77], v134 offset:17040
	ds_write_b128 v134, v[82:85] offset:15040
	s_waitcnt vmcnt(0) lgkmcnt(1)
	v_mul_f64 v[82:83], v[76:77], v[80:81]
	v_fma_f64 v[82:83], v[74:75], v[78:79], -v[82:83]
	v_mul_f64 v[74:75], v[74:75], v[80:81]
	v_fma_f64 v[84:85], v[76:77], v[78:79], v[74:75]
	global_load_dwordx4 v[78:81], v[86:87], off offset:2656
	ds_read_b128 v[74:77], v134 offset:19040
	v_add_co_u32_e64 v86, s[0:1], s0, v72
	v_addc_co_u32_e64 v87, s[0:1], 0, v73, s[0:1]
	v_add_co_u32_e64 v72, s[0:1], s4, v72
	ds_write_b128 v134, v[82:85] offset:17040
	v_addc_co_u32_e64 v73, s[0:1], 0, v73, s[0:1]
	s_waitcnt vmcnt(0) lgkmcnt(1)
	v_mul_f64 v[82:83], v[76:77], v[80:81]
	v_fma_f64 v[82:83], v[74:75], v[78:79], -v[82:83]
	v_mul_f64 v[74:75], v[74:75], v[80:81]
	v_fma_f64 v[84:85], v[76:77], v[78:79], v[74:75]
	global_load_dwordx4 v[78:81], v[86:87], off offset:560
	ds_read_b128 v[74:77], v134 offset:21040
	ds_write_b128 v134, v[82:85] offset:19040
	s_waitcnt vmcnt(0) lgkmcnt(1)
	v_mul_f64 v[82:83], v[76:77], v[80:81]
	v_fma_f64 v[82:83], v[74:75], v[78:79], -v[82:83]
	v_mul_f64 v[74:75], v[74:75], v[80:81]
	v_fma_f64 v[84:85], v[76:77], v[78:79], v[74:75]
	global_load_dwordx4 v[78:81], v[86:87], off offset:2560
	ds_read_b128 v[74:77], v134 offset:23040
	ds_write_b128 v134, v[82:85] offset:21040
	;; [unrolled: 8-line block ×3, first 2 shown]
	s_waitcnt vmcnt(0) lgkmcnt(1)
	v_mul_f64 v[72:73], v[76:77], v[80:81]
	v_fma_f64 v[72:73], v[74:75], v[78:79], -v[72:73]
	v_mul_f64 v[74:75], v[74:75], v[80:81]
	v_fma_f64 v[74:75], v[76:77], v[78:79], v[74:75]
	ds_write_b128 v134, v[72:75] offset:25040
.LBB0_9:
	s_or_b64 exec, exec, s[2:3]
	s_waitcnt lgkmcnt(0)
	s_barrier
	ds_read_b128 v[116:119], v174
	ds_read_b128 v[120:123], v174 offset:2000
	ds_read_b128 v[108:111], v174 offset:4000
	;; [unrolled: 1-line block ×12, first 2 shown]
	s_and_saveexec_b64 s[0:1], vcc
	s_cbranch_execz .LBB0_11
; %bb.10:
	ds_read_b128 v[24:27], v134 offset:1040
	ds_read_b128 v[28:31], v134 offset:3040
	;; [unrolled: 1-line block ×13, first 2 shown]
.LBB0_11:
	s_or_b64 exec, exec, s[0:1]
	s_waitcnt lgkmcnt(11)
	v_add_f64 v[80:81], v[116:117], v[120:121]
	v_add_f64 v[82:83], v[118:119], v[122:123]
	s_waitcnt lgkmcnt(0)
	v_add_f64 v[132:133], v[122:123], v[126:127]
	v_add_f64 v[122:123], v[122:123], -v[126:127]
	s_mov_b32 s2, 0x4267c47c
	s_mov_b32 s4, 0x42a4c3d2
	;; [unrolled: 1-line block ×4, first 2 shown]
	v_add_f64 v[80:81], v[80:81], v[108:109]
	v_add_f64 v[82:83], v[82:83], v[110:111]
	s_mov_b32 s24, 0x24c2f84
	s_mov_b32 s34, 0x4bc48dbf
	;; [unrolled: 1-line block ×6, first 2 shown]
	v_add_f64 v[80:81], v[80:81], v[100:101]
	v_add_f64 v[82:83], v[82:83], v[102:103]
	s_mov_b32 s25, 0xbfe5384d
	s_mov_b32 s35, 0xbfcea1e5
	v_add_f64 v[130:131], v[120:121], v[124:125]
	v_add_f64 v[120:121], v[120:121], -v[124:125]
	v_mul_f64 v[158:159], v[122:123], s[4:5]
	v_mul_f64 v[166:167], v[122:123], s[16:17]
	v_add_f64 v[80:81], v[80:81], v[92:93]
	v_add_f64 v[82:83], v[82:83], v[94:95]
	v_mul_f64 v[176:177], v[122:123], s[20:21]
	v_mul_f64 v[182:183], v[122:123], s[24:25]
	s_mov_b32 s0, 0xe00740e9
	s_mov_b32 s12, 0x1ea71119
	;; [unrolled: 1-line block ×4, first 2 shown]
	v_add_f64 v[80:81], v[80:81], v[84:85]
	v_add_f64 v[82:83], v[82:83], v[86:87]
	s_mov_b32 s26, 0xd0032e0c
	s_mov_b32 s30, 0x93053d00
	;; [unrolled: 1-line block ×6, first 2 shown]
	v_add_f64 v[80:81], v[80:81], v[72:73]
	v_add_f64 v[82:83], v[82:83], v[74:75]
	s_mov_b32 s27, 0xbfe7f3cc
	s_mov_b32 s31, 0xbfef11f4
	v_mul_f64 v[154:155], v[132:133], s[0:1]
	v_fma_f64 v[160:161], v[130:131], s[12:13], v[158:159]
	v_mul_f64 v[162:163], v[132:133], s[12:13]
	v_fma_f64 v[158:159], v[130:131], s[12:13], -v[158:159]
	v_add_f64 v[80:81], v[80:81], v[76:77]
	v_add_f64 v[82:83], v[82:83], v[78:79]
	v_fma_f64 v[168:169], v[130:131], s[14:15], v[166:167]
	v_mul_f64 v[170:171], v[132:133], s[14:15]
	v_fma_f64 v[166:167], v[130:131], s[14:15], -v[166:167]
	v_fma_f64 v[178:179], v[130:131], s[18:19], v[176:177]
	v_mul_f64 v[152:153], v[132:133], s[18:19]
	v_fma_f64 v[176:177], v[130:131], s[18:19], -v[176:177]
	v_add_f64 v[80:81], v[80:81], v[88:89]
	v_add_f64 v[82:83], v[82:83], v[90:91]
	v_fma_f64 v[184:185], v[130:131], s[26:27], v[182:183]
	v_mul_f64 v[186:187], v[132:133], s[26:27]
	v_fma_f64 v[182:183], v[130:131], s[26:27], -v[182:183]
	v_mul_f64 v[132:133], v[132:133], s[30:31]
	s_mov_b32 s23, 0x3fddbe06
	s_mov_b32 s22, s2
	v_add_f64 v[80:81], v[80:81], v[96:97]
	v_add_f64 v[82:83], v[82:83], v[98:99]
	s_mov_b32 s37, 0x3fea55e2
	s_mov_b32 s36, s4
	;; [unrolled: 1-line block ×6, first 2 shown]
	v_add_f64 v[80:81], v[80:81], v[104:105]
	v_add_f64 v[82:83], v[82:83], v[106:107]
	s_mov_b32 s41, 0x3fe5384d
	s_mov_b32 s40, s24
	s_mov_b32 s43, 0x3fcea1e5
	s_mov_b32 s42, s34
	v_fma_f64 v[156:157], v[120:121], s[22:23], v[154:155]
	v_fma_f64 v[154:155], v[120:121], s[2:3], v[154:155]
	v_add_f64 v[80:81], v[80:81], v[112:113]
	v_add_f64 v[82:83], v[82:83], v[114:115]
	;; [unrolled: 1-line block ×3, first 2 shown]
	v_fma_f64 v[164:165], v[120:121], s[36:37], v[162:163]
	v_add_f64 v[158:159], v[116:117], v[158:159]
	v_fma_f64 v[162:163], v[120:121], s[4:5], v[162:163]
	v_add_f64 v[168:169], v[116:117], v[168:169]
	;; [unrolled: 2-line block ×3, first 2 shown]
	v_mul_f64 v[124:125], v[122:123], s[2:3]
	v_mul_f64 v[122:123], v[122:123], s[34:35]
	v_add_f64 v[82:83], v[82:83], v[126:127]
	v_add_f64 v[166:167], v[116:117], v[166:167]
	v_fma_f64 v[170:171], v[120:121], s[16:17], v[170:171]
	v_add_f64 v[178:179], v[116:117], v[178:179]
	v_fma_f64 v[180:181], v[120:121], s[38:39], v[152:153]
	;; [unrolled: 2-line block ×3, first 2 shown]
	v_fma_f64 v[124:125], v[130:131], s[0:1], -v[124:125]
	v_fma_f64 v[190:191], v[130:131], s[30:31], v[122:123]
	v_fma_f64 v[122:123], v[130:131], s[30:31], -v[122:123]
	v_fma_f64 v[152:153], v[120:121], s[20:21], v[152:153]
	v_add_f64 v[184:185], v[116:117], v[184:185]
	v_fma_f64 v[188:189], v[120:121], s[40:41], v[186:187]
	v_add_f64 v[182:183], v[116:117], v[182:183]
	v_add_f64 v[126:127], v[116:117], v[126:127]
	;; [unrolled: 1-line block ×3, first 2 shown]
	v_fma_f64 v[186:187], v[120:121], s[24:25], v[186:187]
	v_add_f64 v[190:191], v[116:117], v[190:191]
	v_fma_f64 v[192:193], v[120:121], s[42:43], v[132:133]
	v_add_f64 v[116:117], v[116:117], v[122:123]
	;; [unrolled: 2-line block ×3, first 2 shown]
	v_add_f64 v[110:111], v[110:111], -v[114:115]
	v_add_f64 v[156:157], v[118:119], v[156:157]
	v_add_f64 v[154:155], v[118:119], v[154:155]
	;; [unrolled: 1-line block ×13, first 2 shown]
	v_add_f64 v[108:109], v[108:109], -v[112:113]
	v_mul_f64 v[112:113], v[110:111], s[4:5]
	v_add_u32_e32 v135, 0x1040, v174
	s_barrier
	v_fma_f64 v[114:115], v[120:121], s[12:13], v[112:113]
	v_fma_f64 v[112:113], v[120:121], s[12:13], -v[112:113]
	v_add_f64 v[114:115], v[114:115], v[126:127]
	v_mul_f64 v[126:127], v[122:123], s[12:13]
	v_add_f64 v[112:113], v[112:113], v[124:125]
	v_fma_f64 v[124:125], v[108:109], s[4:5], v[126:127]
	v_fma_f64 v[130:131], v[108:109], s[36:37], v[126:127]
	v_mul_f64 v[126:127], v[110:111], s[20:21]
	v_add_f64 v[124:125], v[124:125], v[154:155]
	v_mul_f64 v[154:155], v[122:123], s[18:19]
	v_add_f64 v[130:131], v[130:131], v[156:157]
	v_fma_f64 v[132:133], v[120:121], s[18:19], v[126:127]
	v_fma_f64 v[126:127], v[120:121], s[18:19], -v[126:127]
	v_fma_f64 v[156:157], v[108:109], s[38:39], v[154:155]
	v_fma_f64 v[154:155], v[108:109], s[20:21], v[154:155]
	v_add_f64 v[132:133], v[132:133], v[160:161]
	v_add_f64 v[126:127], v[126:127], v[158:159]
	v_mul_f64 v[158:159], v[110:111], s[34:35]
	v_add_f64 v[156:157], v[156:157], v[164:165]
	v_add_f64 v[154:155], v[154:155], v[162:163]
	v_mul_f64 v[162:163], v[122:123], s[30:31]
	v_fma_f64 v[160:161], v[120:121], s[30:31], v[158:159]
	v_fma_f64 v[158:159], v[120:121], s[30:31], -v[158:159]
	v_fma_f64 v[164:165], v[108:109], s[42:43], v[162:163]
	v_fma_f64 v[162:163], v[108:109], s[34:35], v[162:163]
	v_add_f64 v[160:161], v[160:161], v[168:169]
	v_add_f64 v[158:159], v[158:159], v[166:167]
	v_mul_f64 v[166:167], v[110:111], s[40:41]
	v_add_f64 v[164:165], v[164:165], v[172:173]
	v_add_f64 v[162:163], v[162:163], v[170:171]
	v_mul_f64 v[170:171], v[122:123], s[26:27]
	v_fma_f64 v[168:169], v[120:121], s[26:27], v[166:167]
	v_fma_f64 v[166:167], v[120:121], s[26:27], -v[166:167]
	v_fma_f64 v[172:173], v[108:109], s[24:25], v[170:171]
	v_fma_f64 v[170:171], v[108:109], s[40:41], v[170:171]
	v_add_f64 v[168:169], v[168:169], v[178:179]
	v_add_f64 v[166:167], v[166:167], v[176:177]
	v_mul_f64 v[178:179], v[122:123], s[14:15]
	v_mul_f64 v[122:123], v[122:123], s[0:1]
	v_add_f64 v[172:173], v[172:173], v[180:181]
	v_add_f64 v[152:153], v[170:171], v[152:153]
	v_mul_f64 v[170:171], v[110:111], s[28:29]
	v_mul_f64 v[110:111], v[110:111], s[22:23]
	v_fma_f64 v[180:181], v[108:109], s[16:17], v[178:179]
	v_fma_f64 v[178:179], v[108:109], s[28:29], v[178:179]
	;; [unrolled: 1-line block ×3, first 2 shown]
	v_fma_f64 v[170:171], v[120:121], s[14:15], -v[170:171]
	v_add_f64 v[180:181], v[180:181], v[188:189]
	v_add_f64 v[178:179], v[178:179], v[186:187]
	;; [unrolled: 1-line block ×3, first 2 shown]
	v_fma_f64 v[184:185], v[108:109], s[2:3], v[122:123]
	v_fma_f64 v[108:109], v[108:109], s[22:23], v[122:123]
	v_add_f64 v[170:171], v[170:171], v[182:183]
	v_fma_f64 v[182:183], v[120:121], s[0:1], v[110:111]
	v_fma_f64 v[110:111], v[120:121], s[0:1], -v[110:111]
	v_add_f64 v[184:185], v[184:185], v[192:193]
	v_add_f64 v[108:109], v[108:109], v[118:119]
	;; [unrolled: 1-line block ×3, first 2 shown]
	v_add_f64 v[102:103], v[102:103], -v[106:107]
	v_add_f64 v[110:111], v[110:111], v[116:117]
	v_add_f64 v[116:117], v[100:101], v[104:105]
	v_add_f64 v[100:101], v[100:101], -v[104:105]
	v_add_f64 v[182:183], v[182:183], v[190:191]
	v_mul_f64 v[104:105], v[102:103], s[16:17]
	v_fma_f64 v[106:107], v[116:117], s[14:15], v[104:105]
	v_fma_f64 v[104:105], v[116:117], s[14:15], -v[104:105]
	v_add_f64 v[106:107], v[106:107], v[114:115]
	v_mul_f64 v[114:115], v[118:119], s[14:15]
	v_add_f64 v[104:105], v[104:105], v[112:113]
	v_fma_f64 v[112:113], v[100:101], s[16:17], v[114:115]
	v_fma_f64 v[120:121], v[100:101], s[28:29], v[114:115]
	v_mul_f64 v[114:115], v[102:103], s[34:35]
	v_add_f64 v[112:113], v[112:113], v[124:125]
	v_mul_f64 v[124:125], v[118:119], s[30:31]
	v_add_f64 v[120:121], v[120:121], v[130:131]
	v_fma_f64 v[122:123], v[116:117], s[30:31], v[114:115]
	v_fma_f64 v[114:115], v[116:117], s[30:31], -v[114:115]
	v_fma_f64 v[130:131], v[100:101], s[42:43], v[124:125]
	v_fma_f64 v[124:125], v[100:101], s[34:35], v[124:125]
	v_add_f64 v[122:123], v[122:123], v[132:133]
	v_add_f64 v[114:115], v[114:115], v[126:127]
	v_mul_f64 v[126:127], v[102:103], s[38:39]
	v_add_f64 v[130:131], v[130:131], v[156:157]
	v_add_f64 v[124:125], v[124:125], v[154:155]
	v_mul_f64 v[154:155], v[118:119], s[18:19]
	v_fma_f64 v[132:133], v[116:117], s[18:19], v[126:127]
	v_fma_f64 v[126:127], v[116:117], s[18:19], -v[126:127]
	v_fma_f64 v[156:157], v[100:101], s[20:21], v[154:155]
	v_fma_f64 v[154:155], v[100:101], s[38:39], v[154:155]
	v_add_f64 v[132:133], v[132:133], v[160:161]
	v_add_f64 v[126:127], v[126:127], v[158:159]
	v_mul_f64 v[158:159], v[102:103], s[22:23]
	v_add_f64 v[156:157], v[156:157], v[164:165]
	v_add_f64 v[154:155], v[154:155], v[162:163]
	v_mul_f64 v[162:163], v[118:119], s[0:1]
	v_fma_f64 v[160:161], v[116:117], s[0:1], v[158:159]
	v_fma_f64 v[158:159], v[116:117], s[0:1], -v[158:159]
	v_fma_f64 v[164:165], v[100:101], s[2:3], v[162:163]
	v_fma_f64 v[162:163], v[100:101], s[22:23], v[162:163]
	v_add_f64 v[160:161], v[160:161], v[168:169]
	v_add_f64 v[158:159], v[158:159], v[166:167]
	v_mul_f64 v[168:169], v[118:119], s[12:13]
	v_mul_f64 v[118:119], v[118:119], s[26:27]
	v_add_f64 v[164:165], v[164:165], v[172:173]
	v_add_f64 v[152:153], v[162:163], v[152:153]
	v_mul_f64 v[162:163], v[102:103], s[4:5]
	v_mul_f64 v[102:103], v[102:103], s[24:25]
	v_fma_f64 v[172:173], v[100:101], s[36:37], v[168:169]
	v_fma_f64 v[168:169], v[100:101], s[4:5], v[168:169]
	;; [unrolled: 1-line block ×3, first 2 shown]
	v_fma_f64 v[162:163], v[116:117], s[12:13], -v[162:163]
	v_add_f64 v[172:173], v[172:173], v[180:181]
	v_add_f64 v[168:169], v[168:169], v[178:179]
	;; [unrolled: 1-line block ×4, first 2 shown]
	v_fma_f64 v[170:171], v[116:117], s[26:27], v[102:103]
	v_fma_f64 v[102:103], v[116:117], s[26:27], -v[102:103]
	v_fma_f64 v[176:177], v[100:101], s[40:41], v[118:119]
	v_fma_f64 v[100:101], v[100:101], s[24:25], v[118:119]
	v_add_f64 v[170:171], v[170:171], v[182:183]
	v_add_f64 v[102:103], v[102:103], v[110:111]
	;; [unrolled: 1-line block ×3, first 2 shown]
	v_add_f64 v[94:95], v[94:95], -v[98:99]
	v_add_f64 v[100:101], v[100:101], v[108:109]
	v_add_f64 v[108:109], v[92:93], v[96:97]
	v_add_f64 v[92:93], v[92:93], -v[96:97]
	v_add_f64 v[176:177], v[176:177], v[184:185]
	v_mul_f64 v[118:119], v[110:111], s[26:27]
	v_mul_f64 v[96:97], v[94:95], s[20:21]
	v_fma_f64 v[98:99], v[108:109], s[18:19], v[96:97]
	v_fma_f64 v[96:97], v[108:109], s[18:19], -v[96:97]
	v_add_f64 v[98:99], v[98:99], v[106:107]
	v_mul_f64 v[106:107], v[110:111], s[18:19]
	v_add_f64 v[96:97], v[96:97], v[104:105]
	v_fma_f64 v[116:117], v[92:93], s[38:39], v[106:107]
	v_fma_f64 v[104:105], v[92:93], s[20:21], v[106:107]
	v_mul_f64 v[106:107], v[94:95], s[40:41]
	v_add_f64 v[116:117], v[116:117], v[120:121]
	v_add_f64 v[104:105], v[104:105], v[112:113]
	v_fma_f64 v[112:113], v[108:109], s[26:27], v[106:107]
	v_fma_f64 v[106:107], v[108:109], s[26:27], -v[106:107]
	v_fma_f64 v[120:121], v[92:93], s[24:25], v[118:119]
	v_add_f64 v[112:113], v[112:113], v[122:123]
	v_add_f64 v[106:107], v[106:107], v[114:115]
	v_fma_f64 v[114:115], v[92:93], s[40:41], v[118:119]
	v_add_f64 v[120:121], v[120:121], v[130:131]
	v_mul_f64 v[118:119], v[94:95], s[22:23]
	v_add_f64 v[114:115], v[114:115], v[124:125]
	v_mul_f64 v[124:125], v[110:111], s[0:1]
	v_fma_f64 v[122:123], v[108:109], s[0:1], v[118:119]
	v_fma_f64 v[118:119], v[108:109], s[0:1], -v[118:119]
	v_fma_f64 v[130:131], v[92:93], s[2:3], v[124:125]
	v_fma_f64 v[124:125], v[92:93], s[22:23], v[124:125]
	v_add_f64 v[118:119], v[118:119], v[126:127]
	v_mul_f64 v[126:127], v[94:95], s[16:17]
	v_add_f64 v[122:123], v[122:123], v[132:133]
	v_add_f64 v[130:131], v[130:131], v[156:157]
	;; [unrolled: 1-line block ×3, first 2 shown]
	v_mul_f64 v[154:155], v[110:111], s[14:15]
	v_fma_f64 v[132:133], v[108:109], s[14:15], v[126:127]
	v_fma_f64 v[126:127], v[108:109], s[14:15], -v[126:127]
	v_fma_f64 v[156:157], v[92:93], s[28:29], v[154:155]
	v_fma_f64 v[154:155], v[92:93], s[16:17], v[154:155]
	v_add_f64 v[126:127], v[126:127], v[158:159]
	v_add_f64 v[132:133], v[132:133], v[160:161]
	v_mul_f64 v[160:161], v[110:111], s[30:31]
	v_mul_f64 v[110:111], v[110:111], s[12:13]
	v_add_f64 v[156:157], v[156:157], v[164:165]
	v_add_f64 v[152:153], v[154:155], v[152:153]
	v_mul_f64 v[154:155], v[94:95], s[42:43]
	v_mul_f64 v[94:95], v[94:95], s[36:37]
	v_fma_f64 v[164:165], v[92:93], s[34:35], v[160:161]
	v_fma_f64 v[160:161], v[92:93], s[42:43], v[160:161]
	;; [unrolled: 1-line block ×3, first 2 shown]
	v_fma_f64 v[154:155], v[108:109], s[30:31], -v[154:155]
	v_add_f64 v[164:165], v[164:165], v[172:173]
	v_add_f64 v[160:161], v[160:161], v[168:169]
	v_add_f64 v[168:169], v[72:73], -v[76:77]
	v_add_f64 v[158:159], v[158:159], v[166:167]
	v_add_f64 v[154:155], v[154:155], v[162:163]
	v_fma_f64 v[162:163], v[108:109], s[12:13], v[94:95]
	v_fma_f64 v[94:95], v[108:109], s[12:13], -v[94:95]
	v_fma_f64 v[166:167], v[92:93], s[4:5], v[110:111]
	v_fma_f64 v[92:93], v[92:93], s[36:37], v[110:111]
	v_add_f64 v[162:163], v[162:163], v[170:171]
	v_add_f64 v[94:95], v[94:95], v[102:103]
	;; [unrolled: 1-line block ×3, first 2 shown]
	v_add_f64 v[86:87], v[86:87], -v[90:91]
	v_add_f64 v[92:93], v[92:93], v[100:101]
	v_add_f64 v[100:101], v[84:85], v[88:89]
	v_add_f64 v[84:85], v[84:85], -v[88:89]
	v_add_f64 v[170:171], v[74:75], -v[78:79]
	v_add_f64 v[166:167], v[166:167], v[176:177]
	v_mul_f64 v[110:111], v[102:103], s[14:15]
	v_mul_f64 v[88:89], v[86:87], s[24:25]
	v_fma_f64 v[90:91], v[100:101], s[26:27], v[88:89]
	v_fma_f64 v[88:89], v[100:101], s[26:27], -v[88:89]
	v_add_f64 v[90:91], v[90:91], v[98:99]
	v_mul_f64 v[98:99], v[102:103], s[26:27]
	v_add_f64 v[88:89], v[88:89], v[96:97]
	v_fma_f64 v[108:109], v[84:85], s[40:41], v[98:99]
	v_fma_f64 v[96:97], v[84:85], s[24:25], v[98:99]
	v_mul_f64 v[98:99], v[86:87], s[28:29]
	v_add_f64 v[108:109], v[108:109], v[116:117]
	v_add_f64 v[96:97], v[96:97], v[104:105]
	v_fma_f64 v[104:105], v[100:101], s[14:15], v[98:99]
	v_fma_f64 v[98:99], v[100:101], s[14:15], -v[98:99]
	v_mul_f64 v[116:117], v[102:103], s[12:13]
	v_add_f64 v[104:105], v[104:105], v[112:113]
	v_fma_f64 v[112:113], v[84:85], s[16:17], v[110:111]
	v_add_f64 v[98:99], v[98:99], v[106:107]
	v_fma_f64 v[106:107], v[84:85], s[28:29], v[110:111]
	v_mul_f64 v[110:111], v[86:87], s[4:5]
	v_add_f64 v[112:113], v[112:113], v[120:121]
	v_fma_f64 v[120:121], v[84:85], s[36:37], v[116:117]
	v_add_f64 v[106:107], v[106:107], v[114:115]
	v_fma_f64 v[114:115], v[100:101], s[12:13], v[110:111]
	v_fma_f64 v[110:111], v[100:101], s[12:13], -v[110:111]
	v_fma_f64 v[116:117], v[84:85], s[4:5], v[116:117]
	v_add_f64 v[120:121], v[120:121], v[130:131]
	v_add_f64 v[114:115], v[114:115], v[122:123]
	;; [unrolled: 1-line block ×3, first 2 shown]
	v_mul_f64 v[118:119], v[86:87], s[42:43]
	v_add_f64 v[116:117], v[116:117], v[124:125]
	v_mul_f64 v[124:125], v[102:103], s[30:31]
	v_fma_f64 v[122:123], v[100:101], s[30:31], v[118:119]
	v_fma_f64 v[118:119], v[100:101], s[30:31], -v[118:119]
	v_fma_f64 v[130:131], v[84:85], s[34:35], v[124:125]
	v_fma_f64 v[124:125], v[84:85], s[42:43], v[124:125]
	v_add_f64 v[122:123], v[122:123], v[132:133]
	v_add_f64 v[118:119], v[118:119], v[126:127]
	v_mul_f64 v[126:127], v[86:87], s[22:23]
	v_add_f64 v[124:125], v[124:125], v[152:153]
	v_mul_f64 v[152:153], v[102:103], s[0:1]
	v_mul_f64 v[102:103], v[102:103], s[18:19]
	v_add_f64 v[130:131], v[130:131], v[156:157]
	v_mul_f64 v[86:87], v[86:87], s[20:21]
	v_fma_f64 v[132:133], v[100:101], s[0:1], v[126:127]
	v_fma_f64 v[126:127], v[100:101], s[0:1], -v[126:127]
	v_fma_f64 v[156:157], v[84:85], s[2:3], v[152:153]
	v_fma_f64 v[152:153], v[84:85], s[22:23], v[152:153]
	v_add_f64 v[132:133], v[132:133], v[158:159]
	v_fma_f64 v[158:159], v[84:85], s[38:39], v[102:103]
	v_add_f64 v[156:157], v[156:157], v[164:165]
	v_add_f64 v[164:165], v[72:73], v[76:77]
	v_mul_f64 v[76:77], v[170:171], s[34:35]
	v_add_f64 v[126:127], v[126:127], v[154:155]
	v_fma_f64 v[154:155], v[100:101], s[18:19], v[86:87]
	v_fma_f64 v[84:85], v[84:85], s[20:21], v[102:103]
	v_fma_f64 v[86:87], v[100:101], s[18:19], -v[86:87]
	v_add_f64 v[158:159], v[158:159], v[166:167]
	v_add_f64 v[166:167], v[74:75], v[78:79]
	;; [unrolled: 1-line block ×3, first 2 shown]
	v_fma_f64 v[72:73], v[164:165], s[30:31], v[76:77]
	v_fma_f64 v[76:77], v[164:165], s[30:31], -v[76:77]
	v_add_f64 v[154:155], v[154:155], v[162:163]
	v_add_f64 v[162:163], v[84:85], v[92:93]
	;; [unrolled: 1-line block ×3, first 2 shown]
	v_mul_f64 v[78:79], v[166:167], s[30:31]
	v_add_f64 v[72:73], v[72:73], v[90:91]
	v_add_f64 v[76:77], v[76:77], v[88:89]
	v_mul_f64 v[88:89], v[170:171], s[22:23]
	v_mul_f64 v[90:91], v[166:167], s[0:1]
	v_fma_f64 v[74:75], v[168:169], s[42:43], v[78:79]
	v_fma_f64 v[78:79], v[168:169], s[34:35], v[78:79]
	;; [unrolled: 1-line block ×3, first 2 shown]
	v_fma_f64 v[88:89], v[164:165], s[0:1], -v[88:89]
	v_fma_f64 v[86:87], v[168:169], s[2:3], v[90:91]
	v_fma_f64 v[90:91], v[168:169], s[22:23], v[90:91]
	v_add_f64 v[74:75], v[74:75], v[108:109]
	v_add_f64 v[78:79], v[78:79], v[96:97]
	v_mul_f64 v[96:97], v[170:171], s[24:25]
	v_add_f64 v[84:85], v[84:85], v[104:105]
	v_add_f64 v[88:89], v[88:89], v[98:99]
	v_mul_f64 v[98:99], v[166:167], s[26:27]
	v_mul_f64 v[104:105], v[170:171], s[36:37]
	v_add_f64 v[90:91], v[90:91], v[106:107]
	v_mul_f64 v[106:107], v[166:167], s[12:13]
	v_fma_f64 v[92:93], v[164:165], s[26:27], v[96:97]
	v_add_f64 v[86:87], v[86:87], v[112:113]
	v_fma_f64 v[96:97], v[164:165], s[26:27], -v[96:97]
	v_mul_f64 v[112:113], v[170:171], s[20:21]
	v_fma_f64 v[94:95], v[168:169], s[40:41], v[98:99]
	v_fma_f64 v[100:101], v[164:165], s[12:13], v[104:105]
	;; [unrolled: 1-line block ×3, first 2 shown]
	v_fma_f64 v[104:105], v[164:165], s[12:13], -v[104:105]
	v_add_f64 v[92:93], v[92:93], v[114:115]
	v_mul_f64 v[114:115], v[166:167], s[18:19]
	v_fma_f64 v[102:103], v[168:169], s[4:5], v[106:107]
	v_add_f64 v[96:97], v[96:97], v[110:111]
	v_add_f64 v[94:95], v[94:95], v[120:121]
	;; [unrolled: 1-line block ×3, first 2 shown]
	v_mul_f64 v[120:121], v[170:171], s[28:29]
	v_mul_f64 v[122:123], v[166:167], s[14:15]
	v_fma_f64 v[108:109], v[164:165], s[18:19], v[112:113]
	v_fma_f64 v[110:111], v[168:169], s[38:39], v[114:115]
	v_add_f64 v[98:99], v[98:99], v[116:117]
	v_add_f64 v[104:105], v[104:105], v[118:119]
	v_fma_f64 v[106:107], v[168:169], s[36:37], v[106:107]
	v_fma_f64 v[112:113], v[164:165], s[18:19], -v[112:113]
	v_fma_f64 v[116:117], v[164:165], s[14:15], v[120:121]
	v_fma_f64 v[118:119], v[168:169], s[16:17], v[122:123]
	v_fma_f64 v[120:121], v[164:165], s[14:15], -v[120:121]
	v_fma_f64 v[122:123], v[168:169], s[28:29], v[122:123]
	v_fma_f64 v[114:115], v[168:169], s[20:21], v[114:115]
	v_add_f64 v[102:103], v[102:103], v[130:131]
	v_add_f64 v[108:109], v[108:109], v[132:133]
	;; [unrolled: 1-line block ×10, first 2 shown]
	ds_write_b128 v175, v[80:83]
	ds_write_b128 v175, v[72:75] offset:16
	ds_write_b128 v175, v[84:87] offset:32
	;; [unrolled: 1-line block ×12, first 2 shown]
	s_and_saveexec_b64 s[44:45], vcc
	s_cbranch_execz .LBB0_13
; %bb.12:
	v_add_f64 v[132:133], v[28:29], -v[195:196]
	v_add_f64 v[130:131], v[32:33], -v[60:61]
	v_add_f64 v[94:95], v[30:31], v[197:198]
	v_add_f64 v[116:117], v[30:31], -v[197:198]
	v_add_f64 v[108:109], v[36:37], -v[68:69]
	v_add_f64 v[92:93], v[34:35], v[62:63]
	v_add_f64 v[114:115], v[34:35], -v[62:63]
	v_add_f64 v[112:113], v[28:29], v[195:196]
	v_mul_f64 v[72:73], v[132:133], s[34:35]
	v_mul_f64 v[74:75], v[130:131], s[22:23]
	v_add_f64 v[104:105], v[44:45], -v[64:65]
	v_mul_f64 v[80:81], v[116:117], s[34:35]
	v_add_f64 v[90:91], v[38:39], v[70:71]
	v_mul_f64 v[78:79], v[108:109], s[24:25]
	v_add_f64 v[120:121], v[38:39], -v[70:71]
	v_add_f64 v[110:111], v[32:33], v[60:61]
	v_fma_f64 v[76:77], v[94:95], s[30:31], v[72:73]
	v_fma_f64 v[82:83], v[92:93], s[0:1], v[74:75]
	v_mul_f64 v[154:155], v[114:115], s[22:23]
	v_fma_f64 v[126:127], v[112:113], s[30:31], -v[80:81]
	v_fma_f64 v[72:73], v[94:95], s[30:31], -v[72:73]
	v_add_f64 v[100:101], v[48:49], -v[56:57]
	v_add_f64 v[88:89], v[46:47], v[66:67]
	v_add_f64 v[124:125], v[46:47], -v[66:67]
	v_add_f64 v[76:77], v[26:27], v[76:77]
	v_mul_f64 v[152:153], v[104:105], s[36:37]
	v_fma_f64 v[122:123], v[90:91], s[26:27], v[78:79]
	v_add_f64 v[106:107], v[36:37], v[68:69]
	v_mul_f64 v[156:157], v[120:121], s[24:25]
	v_fma_f64 v[160:161], v[110:111], s[0:1], -v[154:155]
	v_add_f64 v[126:127], v[24:25], v[126:127]
	v_fma_f64 v[74:75], v[92:93], s[0:1], -v[74:75]
	v_add_f64 v[76:77], v[82:83], v[76:77]
	v_add_f64 v[72:73], v[26:27], v[72:73]
	v_add_f64 v[96:97], v[40:41], -v[52:53]
	v_add_f64 v[86:87], v[50:51], v[58:59]
	v_add_f64 v[118:119], v[50:51], -v[58:59]
	v_add_f64 v[98:99], v[44:45], v[64:65]
	v_mul_f64 v[82:83], v[100:101], s[20:21]
	v_fma_f64 v[158:159], v[88:89], s[12:13], v[152:153]
	v_add_f64 v[76:77], v[122:123], v[76:77]
	v_mul_f64 v[164:165], v[124:125], s[36:37]
	v_fma_f64 v[168:169], v[106:107], s[26:27], -v[156:157]
	v_add_f64 v[126:127], v[160:161], v[126:127]
	v_fma_f64 v[78:79], v[90:91], s[26:27], -v[78:79]
	v_fma_f64 v[80:81], v[112:113], s[30:31], v[80:81]
	v_add_f64 v[72:73], v[74:75], v[72:73]
	v_add_f64 v[84:85], v[42:43], v[54:55]
	v_add_f64 v[102:103], v[42:43], -v[54:55]
	v_mul_f64 v[162:163], v[96:97], s[28:29]
	v_fma_f64 v[166:167], v[86:87], s[18:19], v[82:83]
	v_add_f64 v[76:77], v[158:159], v[76:77]
	v_add_f64 v[122:123], v[48:49], v[56:57]
	v_mul_f64 v[158:159], v[118:119], s[20:21]
	v_fma_f64 v[74:75], v[98:99], s[12:13], -v[164:165]
	v_add_f64 v[160:161], v[168:169], v[126:127]
	v_fma_f64 v[152:153], v[88:89], s[12:13], -v[152:153]
	v_fma_f64 v[154:155], v[110:111], s[0:1], v[154:155]
	v_add_f64 v[80:81], v[24:25], v[80:81]
	v_add_f64 v[72:73], v[78:79], v[72:73]
	;; [unrolled: 1-line block ×3, first 2 shown]
	v_mul_f64 v[168:169], v[102:103], s[28:29]
	v_fma_f64 v[78:79], v[122:123], s[18:19], -v[158:159]
	v_add_f64 v[74:75], v[74:75], v[160:161]
	v_fma_f64 v[160:161], v[84:85], s[14:15], v[162:163]
	v_fma_f64 v[82:83], v[86:87], s[18:19], -v[82:83]
	v_fma_f64 v[156:157], v[106:107], s[26:27], v[156:157]
	v_add_f64 v[80:81], v[154:155], v[80:81]
	v_add_f64 v[72:73], v[152:153], v[72:73]
	;; [unrolled: 1-line block ×3, first 2 shown]
	v_fma_f64 v[152:153], v[126:127], s[14:15], -v[168:169]
	v_add_f64 v[78:79], v[78:79], v[74:75]
	v_fma_f64 v[154:155], v[84:85], s[14:15], -v[162:163]
	v_fma_f64 v[162:163], v[98:99], s[12:13], v[164:165]
	v_mul_f64 v[164:165], v[132:133], s[24:25]
	v_add_f64 v[80:81], v[156:157], v[80:81]
	v_add_f64 v[82:83], v[82:83], v[72:73]
	;; [unrolled: 1-line block ×3, first 2 shown]
	v_mul_f64 v[76:77], v[116:117], s[24:25]
	v_add_f64 v[72:73], v[152:153], v[78:79]
	v_fma_f64 v[152:153], v[122:123], s[18:19], v[158:159]
	v_mul_f64 v[156:157], v[130:131], s[28:29]
	v_fma_f64 v[158:159], v[94:95], s[26:27], v[164:165]
	v_add_f64 v[80:81], v[162:163], v[80:81]
	v_add_f64 v[78:79], v[154:155], v[82:83]
	v_mul_f64 v[82:83], v[114:115], s[28:29]
	v_fma_f64 v[154:155], v[112:113], s[26:27], -v[76:77]
	v_fma_f64 v[160:161], v[126:127], s[14:15], v[168:169]
	v_mul_f64 v[162:163], v[108:109], s[4:5]
	v_fma_f64 v[166:167], v[92:93], s[14:15], v[156:157]
	v_add_f64 v[158:159], v[26:27], v[158:159]
	v_add_f64 v[80:81], v[152:153], v[80:81]
	v_mul_f64 v[152:153], v[120:121], s[4:5]
	v_fma_f64 v[168:169], v[110:111], s[14:15], -v[82:83]
	v_add_f64 v[154:155], v[24:25], v[154:155]
	v_mul_f64 v[170:171], v[104:105], s[42:43]
	v_fma_f64 v[172:173], v[90:91], s[12:13], v[162:163]
	v_fma_f64 v[164:165], v[94:95], s[26:27], -v[164:165]
	v_add_f64 v[158:159], v[166:167], v[158:159]
	v_mul_f64 v[175:176], v[124:125], s[42:43]
	v_fma_f64 v[177:178], v[106:107], s[12:13], -v[152:153]
	v_mul_f64 v[166:167], v[100:101], s[22:23]
	v_add_f64 v[154:155], v[168:169], v[154:155]
	v_fma_f64 v[168:169], v[88:89], s[30:31], v[170:171]
	v_fma_f64 v[156:157], v[92:93], s[14:15], -v[156:157]
	v_add_f64 v[164:165], v[26:27], v[164:165]
	v_add_f64 v[158:159], v[172:173], v[158:159]
	v_mul_f64 v[179:180], v[118:119], s[22:23]
	v_fma_f64 v[181:182], v[98:99], s[30:31], -v[175:176]
	v_mul_f64 v[172:173], v[96:97], s[20:21]
	v_add_f64 v[154:155], v[177:178], v[154:155]
	v_fma_f64 v[177:178], v[86:87], s[0:1], v[166:167]
	v_fma_f64 v[162:163], v[90:91], s[12:13], -v[162:163]
	v_add_f64 v[156:157], v[156:157], v[164:165]
	v_add_f64 v[158:159], v[168:169], v[158:159]
	v_mul_f64 v[164:165], v[102:103], s[20:21]
	v_fma_f64 v[168:169], v[122:123], s[0:1], -v[179:180]
	v_fma_f64 v[76:77], v[112:113], s[26:27], v[76:77]
	v_add_f64 v[154:155], v[181:182], v[154:155]
	v_fma_f64 v[181:182], v[84:85], s[18:19], v[172:173]
	v_fma_f64 v[170:171], v[88:89], s[30:31], -v[170:171]
	v_add_f64 v[156:157], v[162:163], v[156:157]
	v_add_f64 v[158:159], v[177:178], v[158:159]
	v_fma_f64 v[162:163], v[126:127], s[18:19], -v[164:165]
	v_fma_f64 v[177:178], v[110:111], s[14:15], v[82:83]
	v_add_f64 v[183:184], v[24:25], v[76:77]
	v_add_f64 v[154:155], v[168:169], v[154:155]
	;; [unrolled: 1-line block ×3, first 2 shown]
	v_fma_f64 v[160:161], v[86:87], s[0:1], -v[166:167]
	v_add_f64 v[156:157], v[170:171], v[156:157]
	v_add_f64 v[82:83], v[181:182], v[158:159]
	v_fma_f64 v[152:153], v[106:107], s[12:13], v[152:153]
	v_mul_f64 v[158:159], v[132:133], s[20:21]
	v_add_f64 v[166:167], v[177:178], v[183:184]
	v_add_f64 v[80:81], v[162:163], v[154:155]
	v_mul_f64 v[162:163], v[116:117], s[20:21]
	v_fma_f64 v[154:155], v[84:85], s[18:19], -v[172:173]
	v_add_f64 v[156:157], v[160:161], v[156:157]
	v_fma_f64 v[160:161], v[98:99], s[30:31], v[175:176]
	v_mul_f64 v[168:169], v[130:131], s[40:41]
	v_fma_f64 v[170:171], v[94:95], s[18:19], v[158:159]
	v_add_f64 v[152:153], v[152:153], v[166:167]
	v_mul_f64 v[166:167], v[114:115], s[40:41]
	v_fma_f64 v[172:173], v[112:113], s[18:19], -v[162:163]
	v_fma_f64 v[175:176], v[122:123], s[0:1], v[179:180]
	v_mul_f64 v[177:178], v[108:109], s[22:23]
	v_mul_f64 v[181:182], v[120:121], s[22:23]
	v_fma_f64 v[179:180], v[92:93], s[26:27], v[168:169]
	v_add_f64 v[170:171], v[26:27], v[170:171]
	v_add_f64 v[152:153], v[160:161], v[152:153]
	v_fma_f64 v[160:161], v[110:111], s[26:27], -v[166:167]
	v_add_f64 v[172:173], v[24:25], v[172:173]
	v_mul_f64 v[183:184], v[104:105], s[16:17]
	v_fma_f64 v[158:159], v[94:95], s[18:19], -v[158:159]
	v_fma_f64 v[185:186], v[90:91], s[0:1], v[177:178]
	v_mul_f64 v[187:188], v[124:125], s[16:17]
	v_add_f64 v[170:171], v[179:180], v[170:171]
	v_fma_f64 v[189:190], v[106:107], s[0:1], -v[181:182]
	v_mul_f64 v[179:180], v[100:101], s[42:43]
	v_add_f64 v[160:161], v[160:161], v[172:173]
	v_fma_f64 v[168:169], v[92:93], s[26:27], -v[168:169]
	v_add_f64 v[158:159], v[26:27], v[158:159]
	v_fma_f64 v[172:173], v[88:89], s[14:15], v[183:184]
	v_mul_f64 v[191:192], v[118:119], s[42:43]
	v_add_f64 v[170:171], v[185:186], v[170:171]
	buffer_store_dword v255, off, s[52:55], 0 offset:828 ; 4-byte Folded Spill
	v_mov_b32_e32 v255, v135
	v_mov_b32_e32 v135, v194
	v_fma_f64 v[193:194], v[98:99], s[14:15], -v[187:188]
	v_add_f64 v[160:161], v[189:190], v[160:161]
	v_fma_f64 v[177:178], v[90:91], s[0:1], -v[177:178]
	v_add_f64 v[158:159], v[168:169], v[158:159]
	v_fma_f64 v[168:169], v[86:87], s[30:31], v[179:180]
	v_add_f64 v[170:171], v[172:173], v[170:171]
	v_add_f64 v[152:153], v[175:176], v[152:153]
	v_mul_f64 v[172:173], v[102:103], s[36:37]
	v_fma_f64 v[175:176], v[122:123], s[30:31], -v[191:192]
	v_add_f64 v[160:161], v[193:194], v[160:161]
	v_fma_f64 v[164:165], v[126:127], s[18:19], v[164:165]
	v_mul_f64 v[185:186], v[96:97], s[36:37]
	v_fma_f64 v[183:184], v[88:89], s[14:15], -v[183:184]
	v_add_f64 v[158:159], v[177:178], v[158:159]
	v_add_f64 v[168:169], v[168:169], v[170:171]
	v_fma_f64 v[170:171], v[126:127], s[12:13], -v[172:173]
	v_fma_f64 v[162:163], v[112:113], s[18:19], v[162:163]
	v_add_f64 v[175:176], v[175:176], v[160:161]
	v_add_f64 v[156:157], v[154:155], v[156:157]
	v_fma_f64 v[177:178], v[84:85], s[12:13], v[185:186]
	v_fma_f64 v[179:180], v[86:87], s[30:31], -v[179:180]
	v_add_f64 v[183:184], v[183:184], v[158:159]
	v_add_f64 v[154:155], v[164:165], v[152:153]
	v_fma_f64 v[152:153], v[110:111], s[26:27], v[166:167]
	v_mul_f64 v[164:165], v[132:133], s[16:17]
	v_add_f64 v[162:163], v[24:25], v[162:163]
	v_add_f64 v[158:159], v[170:171], v[175:176]
	v_mul_f64 v[175:176], v[116:117], s[16:17]
	v_add_f64 v[160:161], v[177:178], v[168:169]
	v_fma_f64 v[166:167], v[84:85], s[12:13], -v[185:186]
	v_add_f64 v[168:169], v[179:180], v[183:184]
	v_fma_f64 v[170:171], v[106:107], s[0:1], v[181:182]
	v_mul_f64 v[177:178], v[130:131], s[34:35]
	v_fma_f64 v[179:180], v[94:95], s[14:15], v[164:165]
	v_add_f64 v[152:153], v[152:153], v[162:163]
	v_mul_f64 v[183:184], v[114:115], s[34:35]
	v_fma_f64 v[185:186], v[112:113], s[14:15], -v[175:176]
	v_fma_f64 v[162:163], v[126:127], s[12:13], v[172:173]
	v_fma_f64 v[172:173], v[98:99], s[14:15], v[187:188]
	v_mul_f64 v[181:182], v[108:109], s[38:39]
	v_fma_f64 v[187:188], v[92:93], s[30:31], v[177:178]
	v_add_f64 v[179:180], v[26:27], v[179:180]
	v_add_f64 v[152:153], v[170:171], v[152:153]
	v_fma_f64 v[170:171], v[122:123], s[30:31], v[191:192]
	v_mul_f64 v[191:192], v[120:121], s[38:39]
	v_fma_f64 v[193:194], v[110:111], s[30:31], -v[183:184]
	v_add_f64 v[185:186], v[24:25], v[185:186]
	v_mov_b32_e32 v4, v243
	v_mov_b32_e32 v5, v244
	v_mov_b32_e32 v6, v245
	v_mov_b32_e32 v7, v246
	v_mov_b32_e32 v246, v230
	v_mov_b32_e32 v245, v229
	v_mov_b32_e32 v244, v228
	v_mov_b32_e32 v243, v227
	v_mov_b32_e32 v230, v214
	v_mov_b32_e32 v229, v213
	v_mov_b32_e32 v228, v212
	v_mov_b32_e32 v227, v211
	v_mov_b32_e32 v214, v198
	v_mul_f64 v[189:190], v[104:105], s[22:23]
	v_mov_b32_e32 v213, v197
	v_mov_b32_e32 v212, v196
	;; [unrolled: 1-line block ×3, first 2 shown]
	v_fma_f64 v[195:196], v[90:91], s[18:19], v[181:182]
	v_add_f64 v[179:180], v[187:188], v[179:180]
	v_mul_f64 v[187:188], v[124:125], s[22:23]
	v_fma_f64 v[197:198], v[106:107], s[18:19], -v[191:192]
	v_fma_f64 v[164:165], v[94:95], s[14:15], -v[164:165]
	v_add_f64 v[185:186], v[193:194], v[185:186]
	v_mov_b32_e32 v8, v247
	v_mov_b32_e32 v9, v248
	;; [unrolled: 1-line block ×13, first 2 shown]
	v_add_f64 v[152:153], v[172:173], v[152:153]
	v_mul_f64 v[172:173], v[100:101], s[4:5]
	v_fma_f64 v[193:194], v[88:89], s[0:1], v[189:190]
	v_add_f64 v[179:180], v[195:196], v[179:180]
	v_mov_b32_e32 v217, v201
	v_mov_b32_e32 v216, v200
	;; [unrolled: 1-line block ×3, first 2 shown]
	v_mul_f64 v[199:200], v[118:119], s[4:5]
	v_fma_f64 v[201:202], v[98:99], s[0:1], -v[187:188]
	v_fma_f64 v[177:178], v[92:93], s[30:31], -v[177:178]
	v_add_f64 v[164:165], v[26:27], v[164:165]
	v_add_f64 v[185:186], v[197:198], v[185:186]
	v_mul_f64 v[195:196], v[96:97], s[24:25]
	v_fma_f64 v[197:198], v[86:87], s[12:13], v[172:173]
	v_add_f64 v[179:180], v[193:194], v[179:180]
	v_add_f64 v[152:153], v[170:171], v[152:153]
	v_mul_f64 v[170:171], v[102:103], s[24:25]
	v_fma_f64 v[193:194], v[122:123], s[12:13], -v[199:200]
	v_fma_f64 v[181:182], v[90:91], s[18:19], -v[181:182]
	v_add_f64 v[177:178], v[177:178], v[164:165]
	v_add_f64 v[185:186], v[201:202], v[185:186]
	v_fma_f64 v[201:202], v[84:85], s[26:27], v[195:196]
	v_add_f64 v[179:180], v[197:198], v[179:180]
	v_add_f64 v[164:165], v[166:167], v[168:169]
	v_fma_f64 v[166:167], v[126:127], s[26:27], -v[170:171]
	v_fma_f64 v[189:190], v[88:89], s[0:1], -v[189:190]
	v_fma_f64 v[175:176], v[112:113], s[14:15], v[175:176]
	v_add_f64 v[177:178], v[181:182], v[177:178]
	v_add_f64 v[181:182], v[193:194], v[185:186]
	;; [unrolled: 1-line block ×4, first 2 shown]
	v_fma_f64 v[152:153], v[86:87], s[12:13], -v[172:173]
	v_mul_f64 v[179:180], v[132:133], s[4:5]
	v_fma_f64 v[172:173], v[110:111], s[30:31], v[183:184]
	v_add_f64 v[175:176], v[24:25], v[175:176]
	v_add_f64 v[177:178], v[189:190], v[177:178]
	;; [unrolled: 1-line block ×3, first 2 shown]
	v_mul_f64 v[181:182], v[116:117], s[4:5]
	v_mul_f64 v[185:186], v[130:131], s[20:21]
	v_fma_f64 v[191:192], v[106:107], s[18:19], v[191:192]
	v_fma_f64 v[189:190], v[94:95], s[12:13], v[179:180]
	v_fma_f64 v[183:184], v[84:85], s[26:27], -v[195:196]
	v_add_f64 v[172:173], v[172:173], v[175:176]
	v_add_f64 v[152:153], v[152:153], v[177:178]
	v_mul_f64 v[175:176], v[114:115], s[20:21]
	v_fma_f64 v[177:178], v[112:113], s[12:13], -v[181:182]
	v_mul_f64 v[193:194], v[108:109], s[34:35]
	v_fma_f64 v[195:196], v[92:93], s[18:19], v[185:186]
	v_add_f64 v[189:190], v[26:27], v[189:190]
	v_fma_f64 v[187:188], v[98:99], s[0:1], v[187:188]
	v_add_f64 v[172:173], v[191:192], v[172:173]
	v_mul_f64 v[191:192], v[120:121], s[34:35]
	v_fma_f64 v[197:198], v[110:111], s[18:19], -v[175:176]
	v_add_f64 v[177:178], v[24:25], v[177:178]
	v_mov_b32_e32 v12, v251
	v_mov_b32_e32 v13, v252
	;; [unrolled: 1-line block ×16, first 2 shown]
	v_fma_f64 v[203:204], v[90:91], s[30:31], v[193:194]
	v_add_f64 v[189:190], v[195:196], v[189:190]
	v_fma_f64 v[195:196], v[122:123], s[12:13], v[199:200]
	v_add_f64 v[172:173], v[187:188], v[172:173]
	v_mul_f64 v[187:188], v[124:125], s[40:41]
	v_fma_f64 v[199:200], v[106:107], s[30:31], -v[191:192]
	v_add_f64 v[177:178], v[197:198], v[177:178]
	v_add_f64 v[30:31], v[26:27], v[30:31]
	;; [unrolled: 1-line block ×4, first 2 shown]
	v_mul_f64 v[203:204], v[118:119], s[28:29]
	v_add_f64 v[195:196], v[195:196], v[172:173]
	v_fma_f64 v[0:1], v[98:99], s[26:27], -v[187:188]
	v_add_f64 v[172:173], v[183:184], v[152:153]
	v_add_f64 v[177:178], v[199:200], v[177:178]
	v_fma_f64 v[152:153], v[94:95], s[12:13], -v[179:180]
	v_add_f64 v[30:31], v[30:31], v[34:35]
	v_add_f64 v[28:29], v[28:29], v[32:33]
	v_fma_f64 v[170:171], v[126:127], s[26:27], v[170:171]
	v_mul_f64 v[199:200], v[96:97], s[22:23]
	v_fma_f64 v[183:184], v[122:123], s[14:15], -v[203:204]
	v_fma_f64 v[185:186], v[92:93], s[18:19], -v[185:186]
	v_add_f64 v[177:178], v[0:1], v[177:178]
	v_add_f64 v[152:153], v[26:27], v[152:153]
	v_fma_f64 v[181:182], v[112:113], s[12:13], v[181:182]
	v_mul_f64 v[132:133], v[132:133], s[2:3]
	v_add_f64 v[30:31], v[30:31], v[38:39]
	v_add_f64 v[28:29], v[28:29], v[36:37]
	v_mul_f64 v[201:202], v[104:105], s[40:41]
	v_add_f64 v[170:171], v[170:171], v[195:196]
	v_fma_f64 v[195:196], v[84:85], s[0:1], v[199:200]
	v_add_f64 v[177:178], v[183:184], v[177:178]
	v_fma_f64 v[183:184], v[84:85], s[0:1], -v[199:200]
	v_fma_f64 v[193:194], v[90:91], s[30:31], -v[193:194]
	v_add_f64 v[152:153], v[185:186], v[152:153]
	v_fma_f64 v[175:176], v[110:111], s[18:19], v[175:176]
	v_add_f64 v[181:182], v[24:25], v[181:182]
	v_mul_f64 v[130:131], v[130:131], s[4:5]
	v_fma_f64 v[199:200], v[94:95], s[0:1], v[132:133]
	v_add_f64 v[30:31], v[30:31], v[46:47]
	v_add_f64 v[44:45], v[28:29], v[44:45]
	v_fma_f64 v[185:186], v[88:89], s[26:27], -v[201:202]
	v_add_f64 v[152:153], v[193:194], v[152:153]
	v_fma_f64 v[191:192], v[106:107], s[30:31], v[191:192]
	v_add_f64 v[175:176], v[175:176], v[181:182]
	v_mul_f64 v[108:109], v[108:109], s[16:17]
	v_fma_f64 v[181:182], v[92:93], s[12:13], v[130:131]
	v_add_f64 v[193:194], v[26:27], v[199:200]
	v_add_f64 v[30:31], v[30:31], v[50:51]
	;; [unrolled: 1-line block ×3, first 2 shown]
	v_mul_f64 v[48:49], v[116:117], s[2:3]
	v_mul_f64 v[197:198], v[100:101], s[28:29]
	v_mul_f64 v[179:180], v[102:103], s[22:23]
	v_add_f64 v[32:33], v[185:186], v[152:153]
	v_fma_f64 v[34:35], v[98:99], s[26:27], v[187:188]
	v_add_f64 v[152:153], v[191:192], v[175:176]
	v_mul_f64 v[104:105], v[104:105], s[20:21]
	v_fma_f64 v[175:176], v[90:91], s[14:15], v[108:109]
	v_add_f64 v[181:182], v[181:182], v[193:194]
	v_mul_f64 v[50:51], v[102:103], s[34:35]
	v_fma_f64 v[94:95], v[94:95], s[0:1], -v[132:133]
	v_mul_f64 v[102:103], v[114:115], s[4:5]
	v_add_f64 v[30:31], v[30:31], v[42:43]
	v_add_f64 v[40:41], v[44:45], v[40:41]
	v_fma_f64 v[42:43], v[112:113], s[0:1], v[48:49]
	v_fma_f64 v[48:49], v[112:113], s[0:1], -v[48:49]
	v_fma_f64 v[2:3], v[86:87], s[14:15], v[197:198]
	v_fma_f64 v[197:198], v[86:87], s[14:15], -v[197:198]
	v_fma_f64 v[36:37], v[122:123], s[14:15], v[203:204]
	v_add_f64 v[34:35], v[34:35], v[152:153]
	v_mul_f64 v[38:39], v[100:101], s[24:25]
	v_fma_f64 v[100:101], v[88:89], s[18:19], v[104:105]
	v_add_f64 v[152:153], v[175:176], v[181:182]
	v_mul_f64 v[44:45], v[120:121], s[16:17]
	v_fma_f64 v[92:93], v[92:93], s[12:13], -v[130:131]
	v_add_f64 v[26:27], v[26:27], v[94:95]
	v_fma_f64 v[94:95], v[110:111], s[12:13], v[102:103]
	v_add_f64 v[30:31], v[30:31], v[54:55]
	v_add_f64 v[40:41], v[40:41], v[52:53]
	;; [unrolled: 1-line block ×3, first 2 shown]
	v_fma_f64 v[52:53], v[110:111], s[12:13], -v[102:103]
	v_add_f64 v[24:25], v[24:25], v[48:49]
	v_add_f64 v[32:33], v[197:198], v[32:33]
	;; [unrolled: 1-line block ×4, first 2 shown]
	v_mul_f64 v[100:101], v[124:125], s[20:21]
	v_fma_f64 v[48:49], v[90:91], s[14:15], -v[108:109]
	v_add_f64 v[26:27], v[92:93], v[26:27]
	v_fma_f64 v[54:55], v[106:107], s[14:15], v[44:45]
	v_add_f64 v[30:31], v[30:31], v[58:59]
	v_add_f64 v[42:43], v[94:95], v[42:43]
	v_fma_f64 v[44:45], v[106:107], s[14:15], -v[44:45]
	v_add_f64 v[24:25], v[52:53], v[24:25]
	v_add_f64 v[28:29], v[183:184], v[32:33]
	v_mul_f64 v[32:33], v[96:97], s[34:35]
	v_mul_f64 v[96:97], v[118:119], s[24:25]
	v_fma_f64 v[52:53], v[88:89], s[18:19], -v[104:105]
	v_add_f64 v[26:27], v[48:49], v[26:27]
	v_fma_f64 v[48:49], v[98:99], s[18:19], v[100:101]
	v_add_f64 v[30:31], v[30:31], v[66:67]
	v_add_f64 v[42:43], v[54:55], v[42:43]
	v_fma_f64 v[54:55], v[98:99], s[18:19], -v[100:101]
	v_add_f64 v[24:25], v[44:45], v[24:25]
	v_fma_f64 v[34:35], v[86:87], s[26:27], v[38:39]
	v_fma_f64 v[38:39], v[86:87], s[26:27], -v[38:39]
	v_add_f64 v[26:27], v[52:53], v[26:27]
	v_fma_f64 v[44:45], v[122:123], s[26:27], v[96:97]
	v_add_f64 v[30:31], v[30:31], v[70:71]
	v_add_f64 v[42:43], v[48:49], v[42:43]
	v_fma_f64 v[48:49], v[122:123], s[26:27], -v[96:97]
	v_add_f64 v[24:25], v[54:55], v[24:25]
	v_add_f64 v[54:55], v[34:35], v[36:37]
	;; [unrolled: 1-line block ×4, first 2 shown]
	v_fma_f64 v[38:39], v[126:127], s[30:31], v[50:51]
	v_add_f64 v[30:31], v[30:31], v[62:63]
	v_add_f64 v[42:43], v[44:45], v[42:43]
	v_fma_f64 v[50:51], v[126:127], s[30:31], -v[50:51]
	v_add_f64 v[24:25], v[48:49], v[24:25]
	v_fma_f64 v[205:206], v[88:89], s[26:27], v[201:202]
	v_add_f64 v[40:41], v[40:41], v[64:65]
	v_fma_f64 v[52:53], v[84:85], s[30:31], -v[32:33]
	v_fma_f64 v[46:47], v[126:127], s[0:1], v[179:180]
	v_add_f64 v[36:37], v[30:31], v[213:214]
	v_add_f64 v[30:31], v[38:39], v[42:43]
	v_fma_f64 v[44:45], v[84:85], s[30:31], v[32:33]
	v_add_f64 v[42:43], v[50:51], v[24:25]
	buffer_load_dword v24, off, s[52:55], 0 offset:824 ; 4-byte Folded Reload
	v_add_f64 v[40:41], v[40:41], v[68:69]
	v_add_f64 v[189:190], v[205:206], v[189:190]
	v_fma_f64 v[205:206], v[126:127], s[0:1], -v[179:180]
	v_add_f64 v[32:33], v[52:53], v[26:27]
	v_add_f64 v[26:27], v[46:47], v[175:176]
	v_mov_b32_e32 v199, v215
	v_mov_b32_e32 v200, v216
	;; [unrolled: 1-line block ×3, first 2 shown]
	v_add_f64 v[40:41], v[40:41], v[60:61]
	v_add_f64 v[189:190], v[2:3], v[189:190]
	v_add_f64 v[38:39], v[205:206], v[177:178]
	v_mov_b32_e32 v203, v219
	v_mov_b32_e32 v202, v218
	;; [unrolled: 1-line block ×5, first 2 shown]
	v_add_f64 v[34:35], v[40:41], v[211:212]
	v_mov_b32_e32 v211, v227
	v_mov_b32_e32 v206, v222
	;; [unrolled: 1-line block ×36, first 2 shown]
	v_add_f64 v[40:41], v[195:196], v[189:190]
	v_add_f64 v[44:45], v[44:45], v[54:55]
	s_waitcnt vmcnt(0)
	v_lshl_add_u32 v24, v24, 4, v135
	v_mov_b32_e32 v135, v255
	buffer_load_dword v255, off, s[52:55], 0 offset:828 ; 4-byte Folded Reload
	ds_write_b128 v24, v[34:37]
	ds_write_b128 v24, v[30:33] offset:16
	ds_write_b128 v24, v[26:29] offset:32
	;; [unrolled: 1-line block ×12, first 2 shown]
.LBB0_13:
	s_or_b64 exec, exec, s[44:45]
	s_waitcnt vmcnt(0) lgkmcnt(0)
	s_barrier
	ds_read_b128 v[24:27], v174 offset:5200
	s_mov_b32 s14, 0x134454ff
	s_mov_b32 s15, 0xbfee6f0e
	;; [unrolled: 1-line block ×4, first 2 shown]
	s_waitcnt lgkmcnt(0)
	v_mul_f64 v[28:29], v[213:214], v[26:27]
	s_mov_b32 s0, 0x4755a5e
	s_mov_b32 s1, 0xbfe2cf23
	;; [unrolled: 1-line block ×6, first 2 shown]
	v_fma_f64 v[28:29], v[211:212], v[24:25], v[28:29]
	v_mul_f64 v[24:25], v[213:214], v[24:25]
	v_fma_f64 v[30:31], v[211:212], v[26:27], -v[24:25]
	ds_read_b128 v[24:27], v174 offset:10400
	s_waitcnt lgkmcnt(0)
	v_mul_f64 v[32:33], v[209:210], v[26:27]
	v_fma_f64 v[104:105], v[207:208], v[24:25], v[32:33]
	v_mul_f64 v[24:25], v[209:210], v[24:25]
	v_fma_f64 v[108:109], v[207:208], v[26:27], -v[24:25]
	ds_read_b128 v[24:27], v174 offset:15600
	s_waitcnt lgkmcnt(0)
	v_mul_f64 v[32:33], v[205:206], v[26:27]
	v_fma_f64 v[106:107], v[203:204], v[24:25], v[32:33]
	v_mul_f64 v[24:25], v[205:206], v[24:25]
	v_add_f64 v[96:97], v[104:105], v[106:107]
	v_fma_f64 v[110:111], v[203:204], v[26:27], -v[24:25]
	ds_read_b128 v[24:27], v174 offset:20800
	v_add_f64 v[126:127], v[104:105], -v[106:107]
	s_waitcnt lgkmcnt(0)
	v_mul_f64 v[32:33], v[201:202], v[26:27]
	v_add_f64 v[98:99], v[108:109], v[110:111]
	v_add_f64 v[120:121], v[108:109], -v[110:111]
	v_fma_f64 v[112:113], v[199:200], v[24:25], v[32:33]
	v_mul_f64 v[24:25], v[201:202], v[24:25]
	v_add_f64 v[124:125], v[28:29], -v[112:113]
	v_fma_f64 v[114:115], v[199:200], v[26:27], -v[24:25]
	ds_read_b128 v[24:27], v174 offset:6240
	s_waitcnt lgkmcnt(0)
	v_mul_f64 v[32:33], v[229:230], v[26:27]
	v_add_f64 v[118:119], v[30:31], -v[114:115]
	v_fma_f64 v[84:85], v[227:228], v[24:25], v[32:33]
	v_mul_f64 v[24:25], v[229:230], v[24:25]
	v_fma_f64 v[80:81], v[227:228], v[26:27], -v[24:25]
	ds_read_b128 v[24:27], v174 offset:11440
	s_waitcnt lgkmcnt(0)
	v_mul_f64 v[32:33], v[225:226], v[26:27]
	v_fma_f64 v[88:89], v[223:224], v[24:25], v[32:33]
	v_mul_f64 v[24:25], v[225:226], v[24:25]
	v_fma_f64 v[82:83], v[223:224], v[26:27], -v[24:25]
	ds_read_b128 v[24:27], v174 offset:16640
	s_waitcnt lgkmcnt(0)
	v_mul_f64 v[32:33], v[221:222], v[26:27]
	;; [unrolled: 6-line block ×7, first 2 shown]
	v_fma_f64 v[78:79], v[231:232], v[24:25], v[32:33]
	v_mul_f64 v[24:25], v[233:234], v[24:25]
	v_fma_f64 v[76:77], v[231:232], v[26:27], -v[24:25]
	ds_read_b128 v[24:27], v174 offset:8320
	buffer_load_dword v0, off, s[52:55], 0 offset:236 ; 4-byte Folded Reload
	buffer_load_dword v1, off, s[52:55], 0 offset:240 ; 4-byte Folded Reload
	;; [unrolled: 1-line block ×4, first 2 shown]
	s_waitcnt vmcnt(0) lgkmcnt(0)
	v_mul_f64 v[32:33], v[2:3], v[26:27]
	v_fma_f64 v[52:53], v[0:1], v[24:25], v[32:33]
	v_mul_f64 v[24:25], v[2:3], v[24:25]
	v_fma_f64 v[48:49], v[0:1], v[26:27], -v[24:25]
	ds_read_b128 v[24:27], v174 offset:13520
	buffer_load_dword v0, off, s[52:55], 0 offset:220 ; 4-byte Folded Reload
	buffer_load_dword v1, off, s[52:55], 0 offset:224 ; 4-byte Folded Reload
	;; [unrolled: 1-line block ×4, first 2 shown]
	s_waitcnt vmcnt(0) lgkmcnt(0)
	v_mul_f64 v[32:33], v[2:3], v[26:27]
	v_fma_f64 v[56:57], v[0:1], v[24:25], v[32:33]
	v_mul_f64 v[24:25], v[2:3], v[24:25]
	v_fma_f64 v[50:51], v[0:1], v[26:27], -v[24:25]
	ds_read_b128 v[24:27], v174 offset:18720
	s_waitcnt lgkmcnt(0)
	v_mul_f64 v[32:33], v[253:254], v[26:27]
	v_fma_f64 v[58:59], v[251:252], v[24:25], v[32:33]
	v_mul_f64 v[24:25], v[253:254], v[24:25]
	v_fma_f64 v[54:55], v[251:252], v[26:27], -v[24:25]
	ds_read_b128 v[24:27], v174 offset:23920
	s_waitcnt lgkmcnt(0)
	v_mul_f64 v[32:33], v[249:250], v[26:27]
	v_fma_f64 v[62:63], v[247:248], v[24:25], v[32:33]
	v_mul_f64 v[24:25], v[249:250], v[24:25]
	v_fma_f64 v[60:61], v[247:248], v[26:27], -v[24:25]
	ds_read_b128 v[24:27], v174 offset:9360
	buffer_load_dword v0, off, s[52:55], 0 offset:300 ; 4-byte Folded Reload
	buffer_load_dword v1, off, s[52:55], 0 offset:304 ; 4-byte Folded Reload
	buffer_load_dword v2, off, s[52:55], 0 offset:308 ; 4-byte Folded Reload
	buffer_load_dword v3, off, s[52:55], 0 offset:312 ; 4-byte Folded Reload
	s_waitcnt vmcnt(0) lgkmcnt(0)
	v_mul_f64 v[32:33], v[2:3], v[26:27]
	v_fma_f64 v[36:37], v[0:1], v[24:25], v[32:33]
	v_mul_f64 v[24:25], v[2:3], v[24:25]
	v_fma_f64 v[32:33], v[0:1], v[26:27], -v[24:25]
	ds_read_b128 v[24:27], v174 offset:14560
	buffer_load_dword v0, off, s[52:55], 0 offset:284 ; 4-byte Folded Reload
	buffer_load_dword v1, off, s[52:55], 0 offset:288 ; 4-byte Folded Reload
	buffer_load_dword v2, off, s[52:55], 0 offset:292 ; 4-byte Folded Reload
	buffer_load_dword v3, off, s[52:55], 0 offset:296 ; 4-byte Folded Reload
	s_waitcnt vmcnt(0) lgkmcnt(0)
	;; [unrolled: 10-line block ×4, first 2 shown]
	v_mul_f64 v[44:45], v[2:3], v[26:27]
	v_fma_f64 v[46:47], v[0:1], v[24:25], v[44:45]
	v_mul_f64 v[24:25], v[2:3], v[24:25]
	v_fma_f64 v[44:45], v[0:1], v[26:27], -v[24:25]
	v_add_f64 v[24:25], v[28:29], -v[104:105]
	v_add_f64 v[26:27], v[112:113], -v[106:107]
	v_add_f64 v[100:101], v[24:25], v[26:27]
	v_add_f64 v[24:25], v[30:31], -v[108:109]
	v_add_f64 v[26:27], v[114:115], -v[110:111]
	v_add_f64 v[102:103], v[24:25], v[26:27]
	ds_read_b128 v[24:27], v174
	s_waitcnt lgkmcnt(0)
	v_fma_f64 v[116:117], v[96:97], -0.5, v[24:25]
	v_fma_f64 v[122:123], v[98:99], -0.5, v[26:27]
	v_fma_f64 v[96:97], v[118:119], s[14:15], v[116:117]
	v_fma_f64 v[98:99], v[124:125], s[12:13], v[122:123]
	;; [unrolled: 1-line block ×12, first 2 shown]
	v_add_f64 v[116:117], v[28:29], v[112:113]
	v_add_f64 v[122:123], v[30:31], v[114:115]
	v_fma_f64 v[116:117], v[116:117], -0.5, v[24:25]
	v_fma_f64 v[122:123], v[122:123], -0.5, v[26:27]
	v_add_f64 v[24:25], v[24:25], v[28:29]
	v_add_f64 v[26:27], v[26:27], v[30:31]
	v_add_f64 v[28:29], v[104:105], -v[28:29]
	v_fma_f64 v[130:131], v[120:121], s[12:13], v[116:117]
	v_fma_f64 v[116:117], v[120:121], s[14:15], v[116:117]
	v_add_f64 v[24:25], v[24:25], v[104:105]
	v_add_f64 v[26:27], v[26:27], v[108:109]
	v_add_f64 v[120:121], v[106:107], -v[112:113]
	v_add_f64 v[24:25], v[24:25], v[106:107]
	v_add_f64 v[26:27], v[26:27], v[110:111]
	;; [unrolled: 1-line block ×5, first 2 shown]
	v_add_f64 v[24:25], v[108:109], -v[30:31]
	v_add_f64 v[26:27], v[110:111], -v[114:115]
	v_fma_f64 v[30:31], v[126:127], s[14:15], v[122:123]
	v_fma_f64 v[108:109], v[126:127], s[12:13], v[122:123]
	;; [unrolled: 1-line block ×4, first 2 shown]
	v_add_f64 v[24:25], v[24:25], v[26:27]
	v_fma_f64 v[26:27], v[124:125], s[4:5], v[30:31]
	v_fma_f64 v[30:31], v[124:125], s[0:1], v[108:109]
	v_fma_f64 v[108:109], v[28:29], s[2:3], v[110:111]
	v_fma_f64 v[112:113], v[28:29], s[2:3], v[112:113]
	v_fma_f64 v[110:111], v[24:25], s[2:3], v[26:27]
	v_fma_f64 v[114:115], v[24:25], s[2:3], v[30:31]
	ds_read_b128 v[24:27], v174 offset:4160
	ds_read_b128 v[116:119], v174 offset:1040
	;; [unrolled: 1-line block ×4, first 2 shown]
	s_waitcnt lgkmcnt(0)
	s_barrier
	buffer_load_dword v0, off, s[52:55], 0 offset:440 ; 4-byte Folded Reload
	s_waitcnt vmcnt(0)
	ds_write_b128 v0, v[104:107]
	ds_write_b128 v0, v[96:99] offset:208
	ds_write_b128 v0, v[108:111] offset:416
	;; [unrolled: 1-line block ×4, first 2 shown]
	v_add_f64 v[96:97], v[88:89], -v[84:85]
	v_add_f64 v[98:99], v[90:91], -v[94:95]
	buffer_load_dword v0, off, s[52:55], 0 offset:372 ; 4-byte Folded Reload
	v_add_f64 v[106:107], v[82:83], -v[86:87]
	v_add_f64 v[112:113], v[88:89], -v[90:91]
	;; [unrolled: 1-line block ×4, first 2 shown]
	v_add_f64 v[100:101], v[96:97], v[98:99]
	v_add_f64 v[96:97], v[82:83], -v[80:81]
	v_add_f64 v[98:99], v[86:87], -v[92:93]
	v_add_f64 v[102:103], v[96:97], v[98:99]
	v_add_f64 v[96:97], v[84:85], v[94:95]
	;; [unrolled: 1-line block ×3, first 2 shown]
	v_fma_f64 v[104:105], v[96:97], -0.5, v[116:117]
	v_fma_f64 v[110:111], v[98:99], -0.5, v[118:119]
	v_fma_f64 v[96:97], v[106:107], s[12:13], v[104:105]
	v_fma_f64 v[98:99], v[112:113], s[14:15], v[110:111]
	;; [unrolled: 1-line block ×12, first 2 shown]
	v_add_f64 v[104:105], v[88:89], v[90:91]
	v_add_f64 v[110:111], v[82:83], v[86:87]
	v_fma_f64 v[104:105], v[104:105], -0.5, v[116:117]
	v_fma_f64 v[110:111], v[110:111], -0.5, v[118:119]
	v_add_f64 v[116:117], v[116:117], v[84:85]
	v_add_f64 v[118:119], v[118:119], v[80:81]
	v_add_f64 v[84:85], v[84:85], -v[88:89]
	v_add_f64 v[80:81], v[80:81], -v[82:83]
	v_fma_f64 v[124:125], v[108:109], s[14:15], v[104:105]
	v_fma_f64 v[104:105], v[108:109], s[12:13], v[104:105]
	v_add_f64 v[116:117], v[116:117], v[88:89]
	v_add_f64 v[88:89], v[118:119], v[82:83]
	v_add_f64 v[118:119], v[94:95], -v[90:91]
	v_add_f64 v[82:83], v[92:93], -v[86:87]
	v_fma_f64 v[104:105], v[106:107], s[4:5], v[104:105]
	v_add_f64 v[108:109], v[116:117], v[90:91]
	v_add_f64 v[116:117], v[88:89], v[86:87]
	v_fma_f64 v[86:87], v[114:115], s[12:13], v[110:111]
	v_add_f64 v[84:85], v[84:85], v[118:119]
	v_add_f64 v[88:89], v[108:109], v[94:95]
	;; [unrolled: 1-line block ×3, first 2 shown]
	v_fma_f64 v[92:93], v[114:115], s[14:15], v[110:111]
	v_fma_f64 v[94:95], v[106:107], s[0:1], v[124:125]
	v_add_f64 v[106:107], v[80:81], v[82:83]
	v_fma_f64 v[82:83], v[112:113], s[4:5], v[86:87]
	v_fma_f64 v[86:87], v[112:113], s[0:1], v[92:93]
	;; [unrolled: 1-line block ×5, first 2 shown]
	v_add_f64 v[92:93], v[64:65], -v[76:77]
	v_fma_f64 v[86:87], v[106:107], s[2:3], v[86:87]
	s_waitcnt vmcnt(0)
	ds_write_b128 v0, v[88:91]
	ds_write_b128 v0, v[80:83] offset:208
	ds_write_b128 v0, v[96:99] offset:416
	;; [unrolled: 1-line block ×4, first 2 shown]
	v_add_f64 v[80:81], v[74:75], -v[68:69]
	v_add_f64 v[82:83], v[72:73], -v[78:79]
	buffer_load_dword v0, off, s[52:55], 0 offset:320 ; 4-byte Folded Reload
	v_add_f64 v[90:91], v[66:67], -v[70:71]
	v_add_f64 v[96:97], v[74:75], -v[72:73]
	;; [unrolled: 1-line block ×3, first 2 shown]
	v_add_f64 v[100:101], v[120:121], v[68:69]
	v_add_f64 v[102:103], v[122:123], v[64:65]
	;; [unrolled: 1-line block ×3, first 2 shown]
	v_add_f64 v[80:81], v[66:67], -v[64:65]
	v_add_f64 v[82:83], v[70:71], -v[76:77]
	v_add_f64 v[100:101], v[100:101], v[74:75]
	v_add_f64 v[86:87], v[80:81], v[82:83]
	;; [unrolled: 1-line block ×4, first 2 shown]
	v_add_f64 v[68:69], v[68:69], -v[74:75]
	v_add_f64 v[64:65], v[64:65], -v[66:67]
	v_fma_f64 v[88:89], v[80:81], -0.5, v[120:121]
	v_fma_f64 v[94:95], v[82:83], -0.5, v[122:123]
	v_fma_f64 v[80:81], v[90:91], s[12:13], v[88:89]
	v_fma_f64 v[82:83], v[96:97], s[14:15], v[94:95]
	;; [unrolled: 1-line block ×12, first 2 shown]
	v_add_f64 v[88:89], v[74:75], v[72:73]
	v_add_f64 v[94:95], v[66:67], v[70:71]
	;; [unrolled: 1-line block ×3, first 2 shown]
	v_add_f64 v[66:67], v[76:77], -v[70:71]
	v_fma_f64 v[88:89], v[88:89], -0.5, v[120:121]
	v_fma_f64 v[94:95], v[94:95], -0.5, v[122:123]
	v_add_f64 v[74:75], v[74:75], v[70:71]
	v_fma_f64 v[104:105], v[92:93], s[14:15], v[88:89]
	v_fma_f64 v[88:89], v[92:93], s[12:13], v[88:89]
	v_add_f64 v[92:93], v[100:101], v[72:73]
	v_add_f64 v[100:101], v[78:79], -v[72:73]
	v_fma_f64 v[70:71], v[98:99], s[12:13], v[94:95]
	v_add_f64 v[74:75], v[74:75], v[76:77]
	v_fma_f64 v[76:77], v[98:99], s[14:15], v[94:95]
	v_fma_f64 v[88:89], v[90:91], s[4:5], v[88:89]
	v_add_f64 v[72:73], v[92:93], v[78:79]
	v_add_f64 v[68:69], v[68:69], v[100:101]
	v_fma_f64 v[78:79], v[90:91], s[0:1], v[104:105]
	v_add_f64 v[90:91], v[64:65], v[66:67]
	v_fma_f64 v[66:67], v[96:97], s[4:5], v[70:71]
	v_fma_f64 v[70:71], v[96:97], s[0:1], v[76:77]
	v_add_f64 v[76:77], v[50:51], -v[54:55]
	v_fma_f64 v[64:65], v[68:69], s[2:3], v[78:79]
	v_fma_f64 v[68:69], v[68:69], s[2:3], v[88:89]
	;; [unrolled: 1-line block ×4, first 2 shown]
	s_waitcnt vmcnt(0)
	ds_write_b128 v0, v[72:75]
	ds_write_b128 v0, v[64:67] offset:208
	ds_write_b128 v0, v[80:83] offset:416
	;; [unrolled: 1-line block ×4, first 2 shown]
	v_add_f64 v[64:65], v[52:53], -v[56:57]
	v_add_f64 v[66:67], v[62:63], -v[58:59]
	;; [unrolled: 1-line block ×5, first 2 shown]
	v_add_f64 v[68:69], v[64:65], v[66:67]
	v_add_f64 v[64:65], v[48:49], -v[50:51]
	v_add_f64 v[66:67], v[60:61], -v[54:55]
	v_add_f64 v[70:71], v[64:65], v[66:67]
	v_add_f64 v[64:65], v[56:57], v[58:59]
	;; [unrolled: 1-line block ×3, first 2 shown]
	v_fma_f64 v[72:73], v[64:65], -0.5, v[28:29]
	v_fma_f64 v[78:79], v[66:67], -0.5, v[30:31]
	v_fma_f64 v[64:65], v[74:75], s[14:15], v[72:73]
	v_fma_f64 v[72:73], v[74:75], s[12:13], v[72:73]
	;; [unrolled: 1-line block ×10, first 2 shown]
	v_add_f64 v[72:73], v[52:53], v[62:63]
	v_fma_f64 v[66:67], v[70:71], s[2:3], v[66:67]
	v_fma_f64 v[70:71], v[70:71], s[2:3], v[78:79]
	v_add_f64 v[78:79], v[48:49], v[60:61]
	v_fma_f64 v[72:73], v[72:73], -0.5, v[28:29]
	v_add_f64 v[28:29], v[28:29], v[52:53]
	v_add_f64 v[52:53], v[56:57], -v[52:53]
	v_fma_f64 v[78:79], v[78:79], -0.5, v[30:31]
	v_add_f64 v[30:31], v[30:31], v[48:49]
	v_add_f64 v[48:49], v[50:51], -v[48:49]
	v_add_f64 v[28:29], v[28:29], v[56:57]
	v_fma_f64 v[56:57], v[76:77], s[12:13], v[72:73]
	v_fma_f64 v[72:73], v[76:77], s[14:15], v[72:73]
	v_add_f64 v[30:31], v[30:31], v[50:51]
	v_add_f64 v[50:51], v[54:55], -v[60:61]
	v_add_f64 v[76:77], v[34:35], -v[38:39]
	v_add_f64 v[28:29], v[28:29], v[58:59]
	v_add_f64 v[58:59], v[58:59], -v[62:63]
	v_fma_f64 v[56:57], v[74:75], s[0:1], v[56:57]
	v_add_f64 v[30:31], v[30:31], v[54:55]
	v_fma_f64 v[54:55], v[82:83], s[14:15], v[78:79]
	v_add_f64 v[28:29], v[28:29], v[62:63]
	v_add_f64 v[52:53], v[52:53], v[58:59]
	v_fma_f64 v[58:59], v[74:75], s[4:5], v[72:73]
	v_add_f64 v[30:31], v[30:31], v[60:61]
	v_fma_f64 v[60:61], v[82:83], s[12:13], v[78:79]
	;; [unrolled: 2-line block ×3, first 2 shown]
	v_add_f64 v[74:75], v[32:33], -v[44:45]
	v_add_f64 v[82:83], v[42:43], -v[40:41]
	v_fma_f64 v[48:49], v[52:53], s[2:3], v[56:57]
	v_fma_f64 v[52:53], v[52:53], s[2:3], v[58:59]
	v_add_f64 v[56:57], v[36:37], -v[42:43]
	v_add_f64 v[58:59], v[46:47], -v[40:41]
	v_fma_f64 v[54:55], v[80:81], s[0:1], v[60:61]
	v_fma_f64 v[50:51], v[62:63], s[2:3], v[50:51]
	v_add_f64 v[80:81], v[36:37], -v[46:47]
	v_add_f64 v[60:61], v[56:57], v[58:59]
	v_add_f64 v[56:57], v[32:33], -v[34:35]
	v_add_f64 v[58:59], v[44:45], -v[38:39]
	v_fma_f64 v[54:55], v[62:63], s[2:3], v[54:55]
	ds_write_b128 v255, v[28:31]
	ds_write_b128 v255, v[64:67] offset:208
	ds_write_b128 v255, v[48:51] offset:416
	ds_write_b128 v255, v[52:55] offset:624
	ds_write_b128 v255, v[68:71] offset:832
	buffer_load_dword v0, off, s[52:55], 0 offset:316 ; 4-byte Folded Reload
	v_add_f64 v[62:63], v[56:57], v[58:59]
	v_add_f64 v[58:59], v[34:35], v[38:39]
	;; [unrolled: 1-line block ×3, first 2 shown]
	v_fma_f64 v[78:79], v[58:59], -0.5, v[26:27]
	v_fma_f64 v[72:73], v[56:57], -0.5, v[24:25]
	v_fma_f64 v[58:59], v[80:81], s[12:13], v[78:79]
	v_fma_f64 v[78:79], v[80:81], s[14:15], v[78:79]
	v_fma_f64 v[56:57], v[74:75], s[14:15], v[72:73]
	v_fma_f64 v[72:73], v[74:75], s[12:13], v[72:73]
	v_fma_f64 v[58:59], v[82:83], s[4:5], v[58:59]
	v_fma_f64 v[78:79], v[82:83], s[0:1], v[78:79]
	v_fma_f64 v[56:57], v[76:77], s[0:1], v[56:57]
	v_fma_f64 v[72:73], v[76:77], s[4:5], v[72:73]
	v_fma_f64 v[58:59], v[62:63], s[2:3], v[58:59]
	v_fma_f64 v[62:63], v[62:63], s[2:3], v[78:79]
	v_add_f64 v[78:79], v[32:33], v[44:45]
	v_fma_f64 v[56:57], v[60:61], s[2:3], v[56:57]
	v_fma_f64 v[60:61], v[60:61], s[2:3], v[72:73]
	v_add_f64 v[72:73], v[36:37], v[46:47]
	v_fma_f64 v[78:79], v[78:79], -0.5, v[26:27]
	v_add_f64 v[26:27], v[26:27], v[32:33]
	v_add_f64 v[32:33], v[34:35], -v[32:33]
	v_fma_f64 v[72:73], v[72:73], -0.5, v[24:25]
	v_add_f64 v[24:25], v[24:25], v[36:37]
	v_add_f64 v[36:37], v[42:43], -v[36:37]
	v_add_f64 v[26:27], v[26:27], v[34:35]
	v_add_f64 v[34:35], v[38:39], -v[44:45]
	v_add_f64 v[24:25], v[24:25], v[42:43]
	v_fma_f64 v[42:43], v[76:77], s[12:13], v[72:73]
	v_fma_f64 v[72:73], v[76:77], s[14:15], v[72:73]
	v_add_f64 v[26:27], v[26:27], v[38:39]
	v_fma_f64 v[38:39], v[82:83], s[14:15], v[78:79]
	v_add_f64 v[24:25], v[24:25], v[40:41]
	v_add_f64 v[40:41], v[40:41], -v[46:47]
	v_add_f64 v[26:27], v[26:27], v[44:45]
	v_fma_f64 v[44:45], v[82:83], s[12:13], v[78:79]
	v_add_f64 v[24:25], v[24:25], v[46:47]
	v_add_f64 v[36:37], v[36:37], v[40:41]
	v_fma_f64 v[40:41], v[74:75], s[0:1], v[42:43]
	v_add_f64 v[46:47], v[32:33], v[34:35]
	v_fma_f64 v[34:35], v[80:81], s[4:5], v[38:39]
	v_fma_f64 v[42:43], v[74:75], s[4:5], v[72:73]
	;; [unrolled: 1-line block ×7, first 2 shown]
	s_waitcnt vmcnt(0)
	ds_write_b128 v0, v[24:27]
	ds_write_b128 v0, v[56:59] offset:208
	ds_write_b128 v0, v[32:35] offset:416
	;; [unrolled: 1-line block ×4, first 2 shown]
	s_waitcnt lgkmcnt(0)
	s_barrier
	ds_read_b128 v[24:27], v174 offset:5200
	ds_read_b128 v[28:31], v174 offset:6240
	;; [unrolled: 1-line block ×5, first 2 shown]
	s_waitcnt lgkmcnt(4)
	v_mul_f64 v[44:45], v[150:151], v[26:27]
	s_waitcnt lgkmcnt(3)
	v_mul_f64 v[48:49], v[150:151], v[30:31]
	;; [unrolled: 2-line block ×3, first 2 shown]
	v_mul_f64 v[46:47], v[150:151], v[24:25]
	v_mul_f64 v[50:51], v[150:151], v[28:29]
	;; [unrolled: 1-line block ×3, first 2 shown]
	s_waitcnt lgkmcnt(0)
	v_mul_f64 v[56:57], v[146:147], v[40:41]
	v_fma_f64 v[44:45], v[148:149], v[24:25], v[44:45]
	v_fma_f64 v[48:49], v[148:149], v[28:29], v[48:49]
	v_mul_f64 v[28:29], v[146:147], v[42:43]
	v_fma_f64 v[84:85], v[144:145], v[32:33], v[52:53]
	v_mul_f64 v[32:33], v[142:143], v[38:39]
	v_mul_f64 v[52:53], v[142:143], v[36:37]
	v_fma_f64 v[46:47], v[148:149], v[26:27], -v[46:47]
	v_fma_f64 v[50:51], v[148:149], v[30:31], -v[50:51]
	ds_read_b128 v[24:27], v174 offset:16640
	v_fma_f64 v[86:87], v[144:145], v[34:35], -v[54:55]
	v_fma_f64 v[88:89], v[144:145], v[40:41], v[28:29]
	ds_read_b128 v[28:31], v174 offset:20800
	v_fma_f64 v[90:91], v[144:145], v[42:43], -v[56:57]
	v_fma_f64 v[92:93], v[140:141], v[36:37], v[32:33]
	ds_read_b128 v[32:35], v174 offset:21840
	v_fma_f64 v[94:95], v[140:141], v[38:39], -v[52:53]
	s_waitcnt lgkmcnt(1)
	v_mul_f64 v[54:55], v[138:139], v[30:31]
	v_mul_f64 v[56:57], v[138:139], v[28:29]
	ds_read_b128 v[36:39], v174 offset:7280
	v_mul_f64 v[40:41], v[142:143], v[26:27]
	v_mul_f64 v[42:43], v[142:143], v[24:25]
	buffer_load_dword v4, off, s[52:55], 0 offset:376 ; 4-byte Folded Reload
	buffer_load_dword v5, off, s[52:55], 0 offset:380 ; 4-byte Folded Reload
	;; [unrolled: 1-line block ×4, first 2 shown]
	v_add_f64 v[64:65], v[84:85], v[92:93]
	v_fma_f64 v[100:101], v[136:137], v[28:29], v[54:55]
	v_fma_f64 v[102:103], v[136:137], v[30:31], -v[56:57]
	ds_read_b128 v[28:31], v174 offset:17680
	v_fma_f64 v[96:97], v[140:141], v[24:25], v[40:41]
	v_fma_f64 v[98:99], v[140:141], v[26:27], -v[42:43]
	ds_read_b128 v[24:27], v174 offset:12480
	buffer_load_dword v0, off, s[52:55], 0 offset:356 ; 4-byte Folded Reload
	buffer_load_dword v1, off, s[52:55], 0 offset:360 ; 4-byte Folded Reload
	;; [unrolled: 1-line block ×4, first 2 shown]
	s_waitcnt lgkmcnt(3)
	v_mul_f64 v[40:41], v[138:139], v[34:35]
	v_mul_f64 v[42:43], v[138:139], v[32:33]
	v_add_f64 v[124:125], v[92:93], -v[100:101]
	v_fma_f64 v[104:105], v[136:137], v[32:33], v[40:41]
	v_fma_f64 v[106:107], v[136:137], v[34:35], -v[42:43]
	v_add_f64 v[132:133], v[96:97], -v[104:105]
	s_waitcnt vmcnt(4) lgkmcnt(2)
	v_mul_f64 v[52:53], v[6:7], v[38:39]
	v_mul_f64 v[54:55], v[6:7], v[36:37]
	v_fma_f64 v[108:109], v[4:5], v[36:37], v[52:53]
	s_waitcnt vmcnt(0) lgkmcnt(0)
	v_mul_f64 v[40:41], v[2:3], v[26:27]
	v_mul_f64 v[42:43], v[2:3], v[24:25]
	v_fma_f64 v[110:111], v[4:5], v[38:39], -v[54:55]
	buffer_load_dword v4, off, s[52:55], 0 offset:340 ; 4-byte Folded Reload
	buffer_load_dword v5, off, s[52:55], 0 offset:344 ; 4-byte Folded Reload
	;; [unrolled: 1-line block ×4, first 2 shown]
	ds_read_b128 v[32:35], v174 offset:22880
	v_fma_f64 v[112:113], v[0:1], v[24:25], v[40:41]
	v_fma_f64 v[114:115], v[0:1], v[26:27], -v[42:43]
	buffer_load_dword v0, off, s[52:55], 0 offset:324 ; 4-byte Folded Reload
	buffer_load_dword v1, off, s[52:55], 0 offset:328 ; 4-byte Folded Reload
	;; [unrolled: 1-line block ×4, first 2 shown]
	ds_read_b128 v[24:27], v174 offset:8320
	s_waitcnt vmcnt(4)
	v_mul_f64 v[36:37], v[6:7], v[30:31]
	v_mul_f64 v[38:39], v[6:7], v[28:29]
	s_waitcnt vmcnt(0) lgkmcnt(1)
	v_mul_f64 v[40:41], v[2:3], v[34:35]
	v_mul_f64 v[42:43], v[2:3], v[32:33]
	v_fma_f64 v[116:117], v[4:5], v[28:29], v[36:37]
	v_fma_f64 v[118:119], v[4:5], v[30:31], -v[38:39]
	ds_read_b128 v[28:31], v174 offset:13520
	buffer_load_dword v4, off, s[52:55], 0 offset:444 ; 4-byte Folded Reload
	buffer_load_dword v5, off, s[52:55], 0 offset:448 ; 4-byte Folded Reload
	;; [unrolled: 1-line block ×4, first 2 shown]
	v_fma_f64 v[120:121], v[0:1], v[32:33], v[40:41]
	v_fma_f64 v[122:123], v[0:1], v[34:35], -v[42:43]
	buffer_load_dword v0, off, s[52:55], 0 offset:424 ; 4-byte Folded Reload
	buffer_load_dword v1, off, s[52:55], 0 offset:428 ; 4-byte Folded Reload
	buffer_load_dword v2, off, s[52:55], 0 offset:432 ; 4-byte Folded Reload
	buffer_load_dword v3, off, s[52:55], 0 offset:436 ; 4-byte Folded Reload
	ds_read_b128 v[32:35], v174 offset:18720
	v_add_f64 v[136:137], v[114:115], -v[118:119]
	s_waitcnt vmcnt(4) lgkmcnt(2)
	v_mul_f64 v[36:37], v[6:7], v[26:27]
	v_mul_f64 v[38:39], v[6:7], v[24:25]
	s_waitcnt vmcnt(0) lgkmcnt(1)
	v_mul_f64 v[40:41], v[2:3], v[30:31]
	v_mul_f64 v[42:43], v[2:3], v[28:29]
	v_fma_f64 v[70:71], v[4:5], v[24:25], v[36:37]
	v_fma_f64 v[68:69], v[4:5], v[26:27], -v[38:39]
	ds_read_b128 v[24:27], v174 offset:23920
	buffer_load_dword v4, off, s[52:55], 0 offset:408 ; 4-byte Folded Reload
	buffer_load_dword v5, off, s[52:55], 0 offset:412 ; 4-byte Folded Reload
	;; [unrolled: 1-line block ×4, first 2 shown]
	v_fma_f64 v[74:75], v[0:1], v[28:29], v[40:41]
	v_fma_f64 v[72:73], v[0:1], v[30:31], -v[42:43]
	ds_read_b128 v[28:31], v174 offset:9360
	buffer_load_dword v0, off, s[52:55], 0 offset:392 ; 4-byte Folded Reload
	buffer_load_dword v1, off, s[52:55], 0 offset:396 ; 4-byte Folded Reload
	;; [unrolled: 1-line block ×4, first 2 shown]
	s_waitcnt vmcnt(4) lgkmcnt(2)
	v_mul_f64 v[36:37], v[6:7], v[34:35]
	v_mul_f64 v[38:39], v[6:7], v[32:33]
	s_waitcnt vmcnt(0) lgkmcnt(1)
	v_mul_f64 v[40:41], v[2:3], v[26:27]
	v_mul_f64 v[42:43], v[2:3], v[24:25]
	v_fma_f64 v[78:79], v[4:5], v[32:33], v[36:37]
	v_fma_f64 v[76:77], v[4:5], v[34:35], -v[38:39]
	ds_read_b128 v[32:35], v174 offset:14560
	buffer_load_dword v2, off, s[52:55], 0 offset:508 ; 4-byte Folded Reload
	buffer_load_dword v3, off, s[52:55], 0 offset:512 ; 4-byte Folded Reload
	;; [unrolled: 1-line block ×4, first 2 shown]
	v_fma_f64 v[82:83], v[0:1], v[24:25], v[40:41]
	v_fma_f64 v[80:81], v[0:1], v[26:27], -v[42:43]
	ds_read_b128 v[24:27], v174 offset:19760
	v_add_f64 v[142:143], v[74:75], -v[78:79]
	v_add_f64 v[140:141], v[70:71], -v[82:83]
	s_waitcnt vmcnt(0) lgkmcnt(2)
	v_mul_f64 v[36:37], v[4:5], v[30:31]
	v_mul_f64 v[38:39], v[4:5], v[28:29]
	buffer_load_dword v4, off, s[52:55], 0 offset:492 ; 4-byte Folded Reload
	buffer_load_dword v5, off, s[52:55], 0 offset:496 ; 4-byte Folded Reload
	;; [unrolled: 1-line block ×4, first 2 shown]
	v_fma_f64 v[54:55], v[2:3], v[28:29], v[36:37]
	v_fma_f64 v[52:53], v[2:3], v[30:31], -v[38:39]
	buffer_load_dword v0, off, s[52:55], 0 offset:476 ; 4-byte Folded Reload
	buffer_load_dword v1, off, s[52:55], 0 offset:480 ; 4-byte Folded Reload
	;; [unrolled: 1-line block ×4, first 2 shown]
	ds_read_b128 v[28:31], v174 offset:24960
	s_waitcnt vmcnt(4) lgkmcnt(2)
	v_mul_f64 v[40:41], v[6:7], v[34:35]
	v_mul_f64 v[42:43], v[6:7], v[32:33]
	s_waitcnt vmcnt(0) lgkmcnt(1)
	v_mul_f64 v[36:37], v[2:3], v[26:27]
	v_mul_f64 v[38:39], v[2:3], v[24:25]
	v_fma_f64 v[60:61], v[4:5], v[32:33], v[40:41]
	v_fma_f64 v[56:57], v[4:5], v[34:35], -v[42:43]
	ds_read_b128 v[32:35], v174
	v_add_f64 v[40:41], v[44:45], v[100:101]
	v_fma_f64 v[62:63], v[0:1], v[24:25], v[36:37]
	v_fma_f64 v[58:59], v[0:1], v[26:27], -v[38:39]
	buffer_load_dword v0, off, s[52:55], 0 offset:460 ; 4-byte Folded Reload
	buffer_load_dword v1, off, s[52:55], 0 offset:464 ; 4-byte Folded Reload
	;; [unrolled: 1-line block ×4, first 2 shown]
	s_waitcnt lgkmcnt(0)
	v_fma_f64 v[36:37], v[64:65], -0.5, v[32:33]
	v_add_f64 v[38:39], v[46:47], -v[102:103]
	v_fma_f64 v[40:41], v[40:41], -0.5, v[32:33]
	v_add_f64 v[32:33], v[32:33], v[44:45]
	v_add_f64 v[146:147], v[60:61], -v[62:63]
	v_add_f64 v[32:33], v[32:33], v[84:85]
	s_waitcnt vmcnt(0)
	v_mul_f64 v[24:25], v[2:3], v[30:31]
	v_mul_f64 v[26:27], v[2:3], v[28:29]
	v_fma_f64 v[66:67], v[0:1], v[28:29], v[24:25]
	v_fma_f64 v[64:65], v[0:1], v[30:31], -v[26:27]
	v_fma_f64 v[24:25], v[38:39], s[14:15], v[36:37]
	v_add_f64 v[26:27], v[86:87], -v[94:95]
	v_add_f64 v[28:29], v[44:45], -v[84:85]
	;; [unrolled: 1-line block ×3, first 2 shown]
	v_fma_f64 v[36:37], v[38:39], s[12:13], v[36:37]
	v_fma_f64 v[42:43], v[26:27], s[0:1], v[24:25]
	;; [unrolled: 1-line block ×3, first 2 shown]
	v_add_f64 v[28:29], v[28:29], v[30:31]
	v_fma_f64 v[30:31], v[26:27], s[4:5], v[36:37]
	v_add_f64 v[36:37], v[84:85], -v[44:45]
	v_fma_f64 v[26:27], v[26:27], s[14:15], v[40:41]
	v_fma_f64 v[40:41], v[38:39], s[0:1], v[24:25]
	v_add_f64 v[124:125], v[36:37], v[124:125]
	v_add_f64 v[36:37], v[34:35], v[46:47]
	v_fma_f64 v[126:127], v[38:39], s[4:5], v[26:27]
	v_add_f64 v[26:27], v[32:33], v[92:93]
	v_add_f64 v[32:33], v[86:87], v[94:95]
	;; [unrolled: 1-line block ×3, first 2 shown]
	v_fma_f64 v[40:41], v[124:125], s[2:3], v[40:41]
	v_add_f64 v[24:25], v[36:37], v[86:87]
	v_add_f64 v[36:37], v[84:85], -v[92:93]
	v_add_f64 v[92:93], v[44:45], -v[100:101]
	v_fma_f64 v[32:33], v[32:33], -0.5, v[34:35]
	v_fma_f64 v[34:35], v[38:39], -0.5, v[34:35]
	v_add_f64 v[38:39], v[46:47], -v[86:87]
	v_add_f64 v[44:45], v[102:103], -v[94:95]
	;; [unrolled: 1-line block ×3, first 2 shown]
	v_add_f64 v[84:85], v[24:25], v[94:95]
	v_add_f64 v[24:25], v[26:27], v[100:101]
	v_add_f64 v[94:95], v[94:95], -v[102:103]
	v_add_f64 v[100:101], v[38:39], v[44:45]
	v_fma_f64 v[38:39], v[36:37], s[14:15], v[34:35]
	v_add_f64 v[26:27], v[84:85], v[102:103]
	v_fma_f64 v[84:85], v[92:93], s[12:13], v[32:33]
	v_fma_f64 v[32:33], v[92:93], s[14:15], v[32:33]
	;; [unrolled: 1-line block ×3, first 2 shown]
	v_add_f64 v[102:103], v[88:89], v[96:97]
	ds_read_b128 v[44:47], v174 offset:1040
	v_add_f64 v[86:87], v[86:87], v[94:95]
	v_add_f64 v[94:95], v[50:51], -v[106:107]
	v_fma_f64 v[84:85], v[36:37], s[4:5], v[84:85]
	v_fma_f64 v[130:131], v[36:37], s[0:1], v[32:33]
	;; [unrolled: 1-line block ×5, first 2 shown]
	s_waitcnt lgkmcnt(0)
	v_fma_f64 v[92:93], v[102:103], -0.5, v[44:45]
	v_fma_f64 v[28:29], v[28:29], s[2:3], v[30:31]
	v_fma_f64 v[32:33], v[124:125], s[2:3], v[126:127]
	;; [unrolled: 1-line block ×3, first 2 shown]
	v_add_f64 v[84:85], v[48:49], v[104:105]
	v_fma_f64 v[30:31], v[100:101], s[2:3], v[130:131]
	v_fma_f64 v[42:43], v[86:87], s[2:3], v[42:43]
	;; [unrolled: 1-line block ×4, first 2 shown]
	v_add_f64 v[100:101], v[90:91], -v[98:99]
	v_add_f64 v[102:103], v[48:49], -v[88:89]
	;; [unrolled: 1-line block ×3, first 2 shown]
	v_fma_f64 v[92:93], v[94:95], s[12:13], v[92:93]
	v_fma_f64 v[84:85], v[84:85], -0.5, v[44:45]
	v_add_f64 v[44:45], v[44:45], v[48:49]
	v_add_f64 v[126:127], v[50:51], v[106:107]
	v_add_f64 v[130:131], v[88:89], -v[48:49]
	v_fma_f64 v[86:87], v[100:101], s[0:1], v[86:87]
	v_add_f64 v[102:103], v[102:103], v[124:125]
	v_fma_f64 v[92:93], v[100:101], s[4:5], v[92:93]
	v_fma_f64 v[124:125], v[100:101], s[12:13], v[84:85]
	;; [unrolled: 1-line block ×3, first 2 shown]
	v_add_f64 v[100:101], v[90:91], v[98:99]
	v_add_f64 v[44:45], v[44:45], v[88:89]
	v_fma_f64 v[126:127], v[126:127], -0.5, v[46:47]
	v_add_f64 v[130:131], v[130:131], v[132:133]
	v_fma_f64 v[124:125], v[94:95], s[0:1], v[124:125]
	v_fma_f64 v[94:95], v[94:95], s[4:5], v[84:85]
	v_fma_f64 v[100:101], v[100:101], -0.5, v[46:47]
	v_add_f64 v[46:47], v[46:47], v[50:51]
	v_add_f64 v[44:45], v[44:45], v[96:97]
	v_fma_f64 v[84:85], v[102:103], s[2:3], v[86:87]
	v_add_f64 v[46:47], v[46:47], v[90:91]
	v_add_f64 v[44:45], v[44:45], v[104:105]
	v_add_f64 v[104:105], v[48:49], -v[104:105]
	v_add_f64 v[48:49], v[88:89], -v[96:97]
	;; [unrolled: 1-line block ×6, first 2 shown]
	v_add_f64 v[46:47], v[46:47], v[98:99]
	v_fma_f64 v[98:99], v[104:105], s[14:15], v[100:101]
	v_add_f64 v[88:89], v[88:89], v[96:97]
	v_fma_f64 v[96:97], v[104:105], s[12:13], v[100:101]
	v_fma_f64 v[100:101], v[48:49], s[14:15], v[126:127]
	v_add_f64 v[46:47], v[46:47], v[106:107]
	v_fma_f64 v[106:107], v[48:49], s[12:13], v[126:127]
	v_fma_f64 v[98:99], v[48:49], s[0:1], v[98:99]
	v_add_f64 v[126:127], v[116:117], -v[120:121]
	v_fma_f64 v[96:97], v[48:49], s[4:5], v[96:97]
	v_fma_f64 v[48:49], v[102:103], s[2:3], v[92:93]
	;; [unrolled: 1-line block ×3, first 2 shown]
	v_add_f64 v[102:103], v[50:51], v[90:91]
	v_fma_f64 v[50:51], v[88:89], s[2:3], v[98:99]
	v_add_f64 v[98:99], v[108:109], -v[112:113]
	v_fma_f64 v[92:93], v[130:131], s[2:3], v[94:95]
	v_fma_f64 v[86:87], v[88:89], s[2:3], v[96:97]
	;; [unrolled: 1-line block ×3, first 2 shown]
	v_add_f64 v[104:105], v[120:121], -v[116:117]
	v_add_f64 v[106:107], v[112:113], -v[108:109]
	v_fma_f64 v[90:91], v[102:103], s[2:3], v[100:101]
	v_add_f64 v[100:101], v[112:113], v[116:117]
	v_fma_f64 v[88:89], v[130:131], s[2:3], v[124:125]
	v_add_f64 v[130:131], v[110:111], -v[122:123]
	v_fma_f64 v[94:95], v[102:103], s[2:3], v[96:97]
	v_add_f64 v[102:103], v[108:109], v[120:121]
	v_add_f64 v[104:105], v[98:99], v[104:105]
	ds_read_b128 v[96:99], v174 offset:2080
	v_add_f64 v[124:125], v[106:107], v[126:127]
	v_add_f64 v[106:107], v[114:115], v[118:119]
	;; [unrolled: 1-line block ×3, first 2 shown]
	s_waitcnt lgkmcnt(0)
	v_fma_f64 v[100:101], v[100:101], -0.5, v[96:97]
	v_fma_f64 v[102:103], v[102:103], -0.5, v[96:97]
	v_add_f64 v[96:97], v[96:97], v[108:109]
	v_add_f64 v[108:109], v[108:109], -v[120:121]
	v_fma_f64 v[106:107], v[106:107], -0.5, v[98:99]
	v_fma_f64 v[126:127], v[126:127], -0.5, v[98:99]
	v_add_f64 v[98:99], v[98:99], v[110:111]
	v_fma_f64 v[132:133], v[130:131], s[14:15], v[100:101]
	v_fma_f64 v[100:101], v[130:131], s[12:13], v[100:101]
	v_add_f64 v[96:97], v[96:97], v[112:113]
	v_add_f64 v[112:113], v[112:113], -v[116:117]
	v_add_f64 v[98:99], v[98:99], v[114:115]
	v_fma_f64 v[132:133], v[136:137], s[0:1], v[132:133]
	v_fma_f64 v[138:139], v[136:137], s[4:5], v[100:101]
	v_add_f64 v[96:97], v[96:97], v[116:117]
	v_add_f64 v[116:117], v[110:111], -v[114:115]
	v_add_f64 v[110:111], v[114:115], -v[110:111]
	;; [unrolled: 1-line block ×3, first 2 shown]
	v_fma_f64 v[100:101], v[136:137], s[12:13], v[102:103]
	v_add_f64 v[98:99], v[98:99], v[118:119]
	v_fma_f64 v[102:103], v[136:137], s[14:15], v[102:103]
	v_add_f64 v[136:137], v[68:69], -v[80:81]
	v_add_f64 v[96:97], v[96:97], v[120:121]
	v_add_f64 v[120:121], v[122:123], -v[118:119]
	v_fma_f64 v[118:119], v[108:109], s[12:13], v[106:107]
	v_fma_f64 v[106:107], v[108:109], s[14:15], v[106:107]
	v_add_f64 v[114:115], v[110:111], v[114:115]
	v_add_f64 v[98:99], v[98:99], v[122:123]
	v_fma_f64 v[122:123], v[112:113], s[12:13], v[126:127]
	v_add_f64 v[116:117], v[116:117], v[120:121]
	v_fma_f64 v[120:121], v[112:113], s[14:15], v[126:127]
	v_fma_f64 v[118:119], v[112:113], s[4:5], v[118:119]
	;; [unrolled: 1-line block ×7, first 2 shown]
	v_add_f64 v[138:139], v[72:73], -v[76:77]
	v_fma_f64 v[110:111], v[108:109], s[4:5], v[120:121]
	v_fma_f64 v[120:121], v[108:109], s[0:1], v[122:123]
	v_add_f64 v[122:123], v[80:81], -v[76:77]
	v_fma_f64 v[102:103], v[116:117], s[2:3], v[118:119]
	v_fma_f64 v[106:107], v[116:117], s[2:3], v[106:107]
	v_add_f64 v[116:117], v[70:71], -v[74:75]
	v_add_f64 v[118:119], v[82:83], -v[78:79]
	v_fma_f64 v[108:109], v[124:125], s[2:3], v[112:113]
	v_fma_f64 v[110:111], v[114:115], s[2:3], v[110:111]
	;; [unrolled: 1-line block ×3, first 2 shown]
	v_add_f64 v[120:121], v[68:69], -v[72:73]
	v_fma_f64 v[112:113], v[124:125], s[2:3], v[126:127]
	v_add_f64 v[124:125], v[74:75], v[78:79]
	v_add_f64 v[126:127], v[116:117], v[118:119]
	ds_read_b128 v[116:119], v174 offset:3120
	v_add_f64 v[130:131], v[120:121], v[122:123]
	v_add_f64 v[120:121], v[72:73], v[76:77]
	s_waitcnt lgkmcnt(0)
	v_fma_f64 v[124:125], v[124:125], -0.5, v[116:117]
	v_fma_f64 v[132:133], v[120:121], -0.5, v[118:119]
	v_fma_f64 v[120:121], v[136:137], s[14:15], v[124:125]
	v_fma_f64 v[124:125], v[136:137], s[12:13], v[124:125]
	;; [unrolled: 1-line block ×12, first 2 shown]
	v_add_f64 v[130:131], v[70:71], v[82:83]
	v_add_f64 v[132:133], v[68:69], v[80:81]
	v_fma_f64 v[130:131], v[130:131], -0.5, v[116:117]
	v_add_f64 v[116:117], v[116:117], v[70:71]
	v_fma_f64 v[132:133], v[132:133], -0.5, v[118:119]
	v_add_f64 v[118:119], v[118:119], v[68:69]
	v_add_f64 v[70:71], v[74:75], -v[70:71]
	v_add_f64 v[68:69], v[72:73], -v[68:69]
	v_fma_f64 v[144:145], v[138:139], s[12:13], v[130:131]
	v_add_f64 v[74:75], v[116:117], v[74:75]
	v_fma_f64 v[130:131], v[138:139], s[14:15], v[130:131]
	v_add_f64 v[116:117], v[118:119], v[72:73]
	v_add_f64 v[72:73], v[76:77], -v[80:81]
	v_add_f64 v[74:75], v[74:75], v[78:79]
	v_add_f64 v[78:79], v[78:79], -v[82:83]
	v_add_f64 v[118:119], v[116:117], v[76:77]
	v_fma_f64 v[76:77], v[142:143], s[12:13], v[132:133]
	v_add_f64 v[116:117], v[74:75], v[82:83]
	v_fma_f64 v[74:75], v[142:143], s[14:15], v[132:133]
	v_add_f64 v[118:119], v[118:119], v[80:81]
	v_add_f64 v[70:71], v[70:71], v[78:79]
	v_fma_f64 v[78:79], v[136:137], s[0:1], v[144:145]
	v_fma_f64 v[80:81], v[136:137], s[4:5], v[130:131]
	v_add_f64 v[82:83], v[68:69], v[72:73]
	v_fma_f64 v[76:77], v[140:141], s[0:1], v[76:77]
	v_add_f64 v[144:145], v[54:55], -v[66:67]
	v_fma_f64 v[74:75], v[140:141], s[4:5], v[74:75]
	v_add_f64 v[140:141], v[52:53], -v[64:65]
	v_add_f64 v[142:143], v[56:57], -v[58:59]
	v_fma_f64 v[68:69], v[70:71], s[2:3], v[78:79]
	v_fma_f64 v[72:73], v[70:71], s[2:3], v[80:81]
	v_add_f64 v[78:79], v[66:67], -v[62:63]
	v_add_f64 v[80:81], v[60:61], v[62:63]
	v_fma_f64 v[70:71], v[82:83], s[2:3], v[74:75]
	v_fma_f64 v[74:75], v[82:83], s[2:3], v[76:77]
	v_add_f64 v[76:77], v[54:55], -v[60:61]
	v_add_f64 v[130:131], v[76:77], v[78:79]
	v_add_f64 v[76:77], v[52:53], -v[56:57]
	v_add_f64 v[78:79], v[64:65], -v[58:59]
	v_add_f64 v[132:133], v[76:77], v[78:79]
	ds_read_b128 v[76:79], v174 offset:4160
	s_waitcnt lgkmcnt(0)
	s_barrier
	ds_write_b128 v174, v[24:27]
	ds_write_b128 v174, v[36:39] offset:1040
	ds_write_b128 v174, v[40:43] offset:2080
	;; [unrolled: 1-line block ×9, first 2 shown]
	buffer_load_dword v0, off, s[52:55], 0 offset:524 ; 4-byte Folded Reload
	s_waitcnt vmcnt(0)
	ds_write_b128 v0, v[96:99] offset:10400
	ds_write_b128 v0, v[100:103] offset:11440
	;; [unrolled: 1-line block ×5, first 2 shown]
	buffer_load_dword v0, off, s[52:55], 0 offset:528 ; 4-byte Folded Reload
	v_fma_f64 v[136:137], v[80:81], -0.5, v[76:77]
	v_add_f64 v[80:81], v[56:57], v[58:59]
	s_waitcnt vmcnt(0)
	ds_write_b128 v0, v[116:119] offset:15600
	ds_write_b128 v0, v[120:123] offset:16640
	;; [unrolled: 1-line block ×5, first 2 shown]
	buffer_load_dword v0, off, s[52:55], 0 offset:532 ; 4-byte Folded Reload
	v_fma_f64 v[138:139], v[80:81], -0.5, v[78:79]
	v_fma_f64 v[80:81], v[140:141], s[14:15], v[136:137]
	v_fma_f64 v[136:137], v[140:141], s[12:13], v[136:137]
	;; [unrolled: 1-line block ×10, first 2 shown]
	v_add_f64 v[136:137], v[54:55], v[66:67]
	v_fma_f64 v[82:83], v[132:133], s[2:3], v[82:83]
	v_fma_f64 v[132:133], v[132:133], s[2:3], v[138:139]
	v_add_f64 v[138:139], v[52:53], v[64:65]
	v_fma_f64 v[136:137], v[136:137], -0.5, v[76:77]
	v_add_f64 v[76:77], v[76:77], v[54:55]
	v_add_f64 v[54:55], v[60:61], -v[54:55]
	v_fma_f64 v[138:139], v[138:139], -0.5, v[78:79]
	v_add_f64 v[78:79], v[78:79], v[52:53]
	v_fma_f64 v[148:149], v[142:143], s[12:13], v[136:137]
	v_add_f64 v[60:61], v[76:77], v[60:61]
	v_add_f64 v[52:53], v[56:57], -v[52:53]
	v_fma_f64 v[136:137], v[142:143], s[14:15], v[136:137]
	v_add_f64 v[76:77], v[78:79], v[56:57]
	v_add_f64 v[78:79], v[62:63], -v[66:67]
	v_add_f64 v[60:61], v[60:61], v[62:63]
	v_add_f64 v[56:57], v[58:59], -v[64:65]
	v_add_f64 v[76:77], v[76:77], v[58:59]
	v_fma_f64 v[58:59], v[146:147], s[14:15], v[138:139]
	v_add_f64 v[60:61], v[60:61], v[66:67]
	v_add_f64 v[66:67], v[54:55], v[78:79]
	v_fma_f64 v[54:55], v[140:141], s[0:1], v[148:149]
	v_add_f64 v[78:79], v[52:53], v[56:57]
	v_add_f64 v[62:63], v[76:77], v[64:65]
	v_fma_f64 v[64:65], v[146:147], s[12:13], v[138:139]
	v_fma_f64 v[56:57], v[144:145], s[4:5], v[58:59]
	;; [unrolled: 1-line block ×8, first 2 shown]
	s_waitcnt vmcnt(0)
	ds_write_b128 v0, v[60:63] offset:20800
	ds_write_b128 v0, v[80:83] offset:21840
	;; [unrolled: 1-line block ×5, first 2 shown]
	s_waitcnt lgkmcnt(0)
	s_barrier
	ds_read_b128 v[40:43], v174 offset:5200
	ds_read_b128 v[56:59], v174
	ds_read_b128 v[36:39], v174 offset:1040
	ds_read_b128 v[44:47], v174 offset:10400
	;; [unrolled: 1-line block ×18, first 2 shown]
	buffer_load_dword v0, off, s[52:55], 0 offset:568 ; 4-byte Folded Reload
	buffer_load_dword v1, off, s[52:55], 0 offset:572 ; 4-byte Folded Reload
	;; [unrolled: 1-line block ×4, first 2 shown]
	s_waitcnt vmcnt(0) lgkmcnt(14)
	v_mul_f64 v[120:121], v[2:3], v[42:43]
	v_mul_f64 v[122:123], v[2:3], v[40:41]
	buffer_load_dword v2, off, s[52:55], 0 offset:584 ; 4-byte Folded Reload
	buffer_load_dword v3, off, s[52:55], 0 offset:588 ; 4-byte Folded Reload
	;; [unrolled: 1-line block ×4, first 2 shown]
	ds_read_b128 v[104:107], v174 offset:15600
	ds_read_b128 v[108:111], v174 offset:14560
	;; [unrolled: 1-line block ×4, first 2 shown]
	v_fma_f64 v[120:121], v[0:1], v[40:41], v[120:121]
	v_fma_f64 v[122:123], v[0:1], v[42:43], -v[122:123]
	s_waitcnt vmcnt(0)
	v_mul_f64 v[124:125], v[4:5], v[46:47]
	v_mul_f64 v[126:127], v[4:5], v[44:45]
	buffer_load_dword v4, off, s[52:55], 0 offset:552 ; 4-byte Folded Reload
	buffer_load_dword v5, off, s[52:55], 0 offset:556 ; 4-byte Folded Reload
	buffer_load_dword v6, off, s[52:55], 0 offset:560 ; 4-byte Folded Reload
	buffer_load_dword v7, off, s[52:55], 0 offset:564 ; 4-byte Folded Reload
	v_fma_f64 v[124:125], v[2:3], v[44:45], v[124:125]
	v_fma_f64 v[126:127], v[2:3], v[46:47], -v[126:127]
	buffer_load_dword v0, off, s[52:55], 0 offset:536 ; 4-byte Folded Reload
	buffer_load_dword v1, off, s[52:55], 0 offset:540 ; 4-byte Folded Reload
	;; [unrolled: 1-line block ×4, first 2 shown]
	s_waitcnt vmcnt(4) lgkmcnt(3)
	v_mul_f64 v[40:41], v[6:7], v[106:107]
	v_mul_f64 v[42:43], v[6:7], v[104:105]
	buffer_load_dword v6, off, s[52:55], 0 offset:632 ; 4-byte Folded Reload
	buffer_load_dword v7, off, s[52:55], 0 offset:636 ; 4-byte Folded Reload
	;; [unrolled: 1-line block ×4, first 2 shown]
	v_fma_f64 v[138:139], v[4:5], v[104:105], v[40:41]
	v_fma_f64 v[140:141], v[4:5], v[106:107], -v[42:43]
	s_waitcnt vmcnt(4)
	v_mul_f64 v[44:45], v[2:3], v[54:55]
	v_mul_f64 v[46:47], v[2:3], v[52:53]
	v_fma_f64 v[142:143], v[0:1], v[52:53], v[44:45]
	v_fma_f64 v[144:145], v[0:1], v[54:55], -v[46:47]
	s_waitcnt vmcnt(0)
	v_mul_f64 v[130:131], v[8:9], v[66:67]
	v_mul_f64 v[132:133], v[8:9], v[64:65]
	buffer_load_dword v8, off, s[52:55], 0 offset:648 ; 4-byte Folded Reload
	buffer_load_dword v9, off, s[52:55], 0 offset:652 ; 4-byte Folded Reload
	buffer_load_dword v10, off, s[52:55], 0 offset:656 ; 4-byte Folded Reload
	buffer_load_dword v11, off, s[52:55], 0 offset:660 ; 4-byte Folded Reload
	ds_read_b128 v[104:107], v174 offset:24960
	v_fma_f64 v[64:65], v[6:7], v[64:65], v[130:131]
	v_fma_f64 v[66:67], v[6:7], v[66:67], -v[132:133]
	buffer_load_dword v4, off, s[52:55], 0 offset:616 ; 4-byte Folded Reload
	buffer_load_dword v5, off, s[52:55], 0 offset:620 ; 4-byte Folded Reload
	;; [unrolled: 1-line block ×8, first 2 shown]
	s_waitcnt vmcnt(8)
	v_mul_f64 v[136:137], v[10:11], v[50:51]
	v_mul_f64 v[40:41], v[10:11], v[48:49]
	v_fma_f64 v[130:131], v[8:9], v[48:49], v[136:137]
	s_waitcnt vmcnt(4)
	v_mul_f64 v[42:43], v[6:7], v[74:75]
	v_fma_f64 v[132:133], v[8:9], v[50:51], -v[40:41]
	v_mul_f64 v[40:41], v[6:7], v[72:73]
	buffer_load_dword v6, off, s[52:55], 0 offset:696 ; 4-byte Folded Reload
	buffer_load_dword v7, off, s[52:55], 0 offset:700 ; 4-byte Folded Reload
	;; [unrolled: 1-line block ×4, first 2 shown]
	s_waitcnt vmcnt(4)
	v_mul_f64 v[44:45], v[2:3], v[62:63]
	v_mul_f64 v[46:47], v[2:3], v[60:61]
	v_fma_f64 v[72:73], v[4:5], v[72:73], v[42:43]
	v_fma_f64 v[74:75], v[4:5], v[74:75], -v[40:41]
	v_fma_f64 v[60:61], v[0:1], v[60:61], v[44:45]
	v_fma_f64 v[62:63], v[0:1], v[62:63], -v[46:47]
	s_waitcnt vmcnt(0)
	v_mul_f64 v[48:49], v[8:9], v[70:71]
	v_mul_f64 v[50:51], v[8:9], v[68:69]
	buffer_load_dword v8, off, s[52:55], 0 offset:712 ; 4-byte Folded Reload
	buffer_load_dword v9, off, s[52:55], 0 offset:716 ; 4-byte Folded Reload
	;; [unrolled: 1-line block ×4, first 2 shown]
	v_fma_f64 v[136:137], v[6:7], v[68:69], v[48:49]
	v_fma_f64 v[146:147], v[6:7], v[70:71], -v[50:51]
	buffer_load_dword v4, off, s[52:55], 0 offset:680 ; 4-byte Folded Reload
	buffer_load_dword v5, off, s[52:55], 0 offset:684 ; 4-byte Folded Reload
	;; [unrolled: 1-line block ×12, first 2 shown]
	v_add_f64 v[68:69], v[120:121], v[142:143]
	s_waitcnt vmcnt(12)
	v_mul_f64 v[52:53], v[10:11], v[82:83]
	v_mul_f64 v[42:43], v[10:11], v[80:81]
	v_fma_f64 v[80:81], v[8:9], v[80:81], v[52:53]
	v_fma_f64 v[82:83], v[8:9], v[82:83], -v[42:43]
	buffer_load_dword v8, off, s[52:55], 0 offset:760 ; 4-byte Folded Reload
	buffer_load_dword v9, off, s[52:55], 0 offset:764 ; 4-byte Folded Reload
	;; [unrolled: 1-line block ×4, first 2 shown]
	s_waitcnt vmcnt(12)
	v_mul_f64 v[40:41], v[6:7], v[78:79]
	v_mul_f64 v[42:43], v[6:7], v[76:77]
	s_waitcnt vmcnt(8)
	v_mul_f64 v[44:45], v[2:3], v[90:91]
	v_mul_f64 v[46:47], v[2:3], v[88:89]
	;; [unrolled: 3-line block ×3, first 2 shown]
	v_fma_f64 v[76:77], v[4:5], v[76:77], v[40:41]
	v_fma_f64 v[78:79], v[4:5], v[78:79], -v[42:43]
	v_fma_f64 v[88:89], v[0:1], v[88:89], v[44:45]
	v_fma_f64 v[90:91], v[0:1], v[90:91], -v[46:47]
	;; [unrolled: 2-line block ×3, first 2 shown]
	buffer_load_dword v12, off, s[52:55], 0 offset:744 ; 4-byte Folded Reload
	buffer_load_dword v13, off, s[52:55], 0 offset:748 ; 4-byte Folded Reload
	;; [unrolled: 1-line block ×4, first 2 shown]
	v_mul_f64 v[40:41], v[22:23], v[102:103]
	v_mul_f64 v[22:23], v[22:23], v[100:101]
	s_waitcnt lgkmcnt(3)
	v_mul_f64 v[42:43], v[18:19], v[110:111]
	v_fma_f64 v[40:41], v[20:21], v[100:101], v[40:41]
	v_fma_f64 v[20:21], v[20:21], v[102:103], -v[22:23]
	v_fma_f64 v[22:23], v[16:17], v[108:109], v[42:43]
	v_add_f64 v[100:101], v[140:141], -v[144:145]
	v_add_f64 v[102:103], v[36:37], v[64:65]
	s_waitcnt vmcnt(4)
	v_mul_f64 v[50:51], v[10:11], v[86:87]
	v_mul_f64 v[2:3], v[10:11], v[84:85]
	v_fma_f64 v[98:99], v[8:9], v[84:85], v[50:51]
	v_fma_f64 v[54:55], v[8:9], v[86:87], -v[2:3]
	buffer_load_dword v8, off, s[52:55], 0 offset:728 ; 4-byte Folded Reload
	buffer_load_dword v9, off, s[52:55], 0 offset:732 ; 4-byte Folded Reload
	buffer_load_dword v10, off, s[52:55], 0 offset:736 ; 4-byte Folded Reload
	buffer_load_dword v11, off, s[52:55], 0 offset:740 ; 4-byte Folded Reload
	v_add_f64 v[84:85], v[126:127], -v[140:141]
	v_add_f64 v[86:87], v[120:121], -v[142:143]
	s_waitcnt vmcnt(4) lgkmcnt(2)
	v_mul_f64 v[4:5], v[14:15], v[114:115]
	v_mul_f64 v[0:1], v[14:15], v[112:113]
	v_fma_f64 v[112:113], v[12:13], v[112:113], v[4:5]
	v_fma_f64 v[114:115], v[12:13], v[114:115], -v[0:1]
	buffer_load_dword v12, off, s[52:55], 0 offset:808 ; 4-byte Folded Reload
	buffer_load_dword v13, off, s[52:55], 0 offset:812 ; 4-byte Folded Reload
	;; [unrolled: 1-line block ×4, first 2 shown]
	v_add_f64 v[4:5], v[124:125], v[138:139]
	v_add_f64 v[0:1], v[56:57], v[120:121]
	;; [unrolled: 1-line block ×4, first 2 shown]
	s_waitcnt vmcnt(4)
	v_mul_f64 v[2:3], v[10:11], v[94:95]
	v_mul_f64 v[6:7], v[10:11], v[92:93]
	v_fma_f64 v[92:93], v[8:9], v[92:93], v[2:3]
	v_fma_f64 v[94:95], v[8:9], v[94:95], -v[6:7]
	buffer_load_dword v8, off, s[52:55], 0 offset:792 ; 4-byte Folded Reload
	buffer_load_dword v9, off, s[52:55], 0 offset:796 ; 4-byte Folded Reload
	;; [unrolled: 1-line block ×4, first 2 shown]
	v_mul_f64 v[6:7], v[18:19], v[108:109]
	v_fma_f64 v[2:3], v[4:5], -0.5, v[56:57]
	v_add_f64 v[4:5], v[122:123], -v[144:145]
	v_add_f64 v[108:109], v[132:133], -v[74:75]
	s_waitcnt vmcnt(4) lgkmcnt(1)
	v_mul_f64 v[18:19], v[14:15], v[118:119]
	v_mul_f64 v[14:15], v[14:15], v[116:117]
	v_fma_f64 v[46:47], v[16:17], v[110:111], -v[6:7]
	v_fma_f64 v[6:7], v[68:69], -0.5, v[56:57]
	v_fma_f64 v[70:71], v[4:5], s[14:15], v[2:3]
	v_fma_f64 v[2:3], v[4:5], s[12:13], v[2:3]
	;; [unrolled: 1-line block ×3, first 2 shown]
	v_fma_f64 v[44:45], v[12:13], v[118:119], -v[14:15]
	v_add_f64 v[12:13], v[126:127], v[140:141]
	v_add_f64 v[14:15], v[142:143], -v[138:139]
	v_add_f64 v[18:19], v[124:125], -v[120:121]
	v_fma_f64 v[16:17], v[84:85], s[12:13], v[6:7]
	v_add_f64 v[56:57], v[138:139], -v[142:143]
	v_fma_f64 v[6:7], v[84:85], s[14:15], v[6:7]
	v_add_f64 v[68:69], v[58:59], v[122:123]
	v_fma_f64 v[2:3], v[84:85], s[4:5], v[2:3]
	v_add_f64 v[110:111], v[38:39], v[66:67]
	v_add_f64 v[116:117], v[64:65], -v[60:61]
	v_add_f64 v[118:119], v[76:77], -v[88:89]
	v_add_f64 v[18:19], v[18:19], v[56:57]
	v_add_f64 v[56:57], v[68:69], v[126:127]
	s_waitcnt vmcnt(0) lgkmcnt(0)
	v_mul_f64 v[42:43], v[10:11], v[106:107]
	v_mul_f64 v[10:11], v[10:11], v[104:105]
	v_fma_f64 v[50:51], v[8:9], v[104:105], v[42:43]
	v_fma_f64 v[42:43], v[8:9], v[106:107], -v[10:11]
	v_add_f64 v[10:11], v[120:121], -v[124:125]
	v_fma_f64 v[8:9], v[84:85], s[0:1], v[70:71]
	v_fma_f64 v[70:71], v[12:13], -0.5, v[58:59]
	v_add_f64 v[84:85], v[124:125], -v[138:139]
	v_add_f64 v[106:107], v[66:67], -v[62:63]
	;; [unrolled: 1-line block ×3, first 2 shown]
	v_add_f64 v[10:11], v[10:11], v[14:15]
	v_fma_f64 v[14:15], v[4:5], s[0:1], v[16:17]
	v_fma_f64 v[4:5], v[4:5], s[4:5], v[6:7]
	v_add_f64 v[6:7], v[122:123], v[144:145]
	v_fma_f64 v[68:69], v[86:87], s[12:13], v[70:71]
	v_add_f64 v[16:17], v[0:1], v[142:143]
	v_fma_f64 v[12:13], v[10:11], s[2:3], v[8:9]
	v_fma_f64 v[0:1], v[10:11], s[2:3], v[2:3]
	;; [unrolled: 1-line block ×3, first 2 shown]
	v_fma_f64 v[2:3], v[6:7], -0.5, v[58:59]
	v_fma_f64 v[4:5], v[18:19], s[2:3], v[4:5]
	v_add_f64 v[18:19], v[130:131], v[72:73]
	v_add_f64 v[6:7], v[56:57], v[140:141]
	v_fma_f64 v[10:11], v[84:85], s[4:5], v[68:69]
	v_add_f64 v[14:15], v[122:123], -v[126:127]
	v_add_f64 v[56:57], v[144:145], -v[140:141]
	v_fma_f64 v[58:59], v[86:87], s[14:15], v[70:71]
	v_fma_f64 v[68:69], v[84:85], s[14:15], v[2:3]
	v_add_f64 v[70:71], v[126:127], -v[122:123]
	v_fma_f64 v[2:3], v[84:85], s[12:13], v[2:3]
	v_fma_f64 v[104:105], v[18:19], -0.5, v[36:37]
	v_add_f64 v[18:19], v[6:7], v[144:145]
	v_add_f64 v[122:123], v[112:113], -v[92:93]
	v_add_f64 v[56:57], v[14:15], v[56:57]
	v_fma_f64 v[58:59], v[84:85], s[0:1], v[58:59]
	v_fma_f64 v[68:69], v[86:87], s[4:5], v[68:69]
	v_add_f64 v[70:71], v[70:71], v[100:101]
	v_fma_f64 v[84:85], v[86:87], s[0:1], v[2:3]
	v_add_f64 v[86:87], v[64:65], v[60:61]
	v_add_f64 v[100:101], v[102:103], v[130:131]
	v_fma_f64 v[102:103], v[106:107], s[14:15], v[104:105]
	v_fma_f64 v[14:15], v[56:57], s[2:3], v[10:11]
	;; [unrolled: 1-line block ×5, first 2 shown]
	v_fma_f64 v[36:37], v[86:87], -0.5, v[36:37]
	v_add_f64 v[68:69], v[64:65], -v[130:131]
	v_fma_f64 v[58:59], v[108:109], s[0:1], v[102:103]
	v_add_f64 v[70:71], v[132:133], v[74:75]
	v_add_f64 v[84:85], v[60:61], -v[72:73]
	v_fma_f64 v[86:87], v[106:107], s[12:13], v[104:105]
	v_add_f64 v[102:103], v[130:131], -v[64:65]
	v_add_f64 v[104:105], v[72:73], -v[60:61]
	v_add_f64 v[56:57], v[100:101], v[72:73]
	v_fma_f64 v[100:101], v[108:109], s[12:13], v[36:37]
	v_fma_f64 v[36:37], v[108:109], s[14:15], v[36:37]
	v_fma_f64 v[70:71], v[70:71], -0.5, v[38:39]
	v_add_f64 v[64:65], v[68:69], v[84:85]
	v_fma_f64 v[68:69], v[108:109], s[4:5], v[86:87]
	v_add_f64 v[72:73], v[130:131], -v[72:73]
	v_add_f64 v[86:87], v[102:103], v[104:105]
	v_add_f64 v[102:103], v[66:67], v[62:63]
	v_fma_f64 v[84:85], v[106:107], s[0:1], v[100:101]
	v_fma_f64 v[100:101], v[106:107], s[4:5], v[36:37]
	v_add_f64 v[104:105], v[110:111], v[132:133]
	v_fma_f64 v[106:107], v[116:117], s[12:13], v[70:71]
	v_add_f64 v[36:37], v[56:57], v[60:61]
	v_fma_f64 v[56:57], v[64:65], s[2:3], v[58:59]
	v_fma_f64 v[60:61], v[64:65], s[2:3], v[68:69]
	v_fma_f64 v[38:39], v[102:103], -0.5, v[38:39]
	v_fma_f64 v[64:65], v[86:87], s[2:3], v[84:85]
	v_fma_f64 v[68:69], v[86:87], s[2:3], v[100:101]
	v_add_f64 v[58:59], v[104:105], v[74:75]
	v_fma_f64 v[84:85], v[72:73], s[4:5], v[106:107]
	v_add_f64 v[100:101], v[80:81], v[76:77]
	;; [unrolled: 2-line block ×3, first 2 shown]
	v_fma_f64 v[104:105], v[72:73], s[14:15], v[38:39]
	v_add_f64 v[86:87], v[66:67], -v[132:133]
	v_add_f64 v[102:103], v[62:63], -v[74:75]
	;; [unrolled: 1-line block ×4, first 2 shown]
	v_fma_f64 v[38:39], v[72:73], s[12:13], v[38:39]
	v_fma_f64 v[100:101], v[100:101], -0.5, v[32:33]
	v_add_f64 v[108:109], v[146:147], -v[90:91]
	v_fma_f64 v[70:71], v[72:73], s[0:1], v[70:71]
	v_fma_f64 v[72:73], v[116:117], s[4:5], v[104:105]
	v_add_f64 v[104:105], v[106:107], v[80:81]
	v_add_f64 v[106:107], v[136:137], v[88:89]
	;; [unrolled: 1-line block ×4, first 2 shown]
	v_fma_f64 v[102:103], v[116:117], s[0:1], v[38:39]
	v_fma_f64 v[110:111], v[108:109], s[14:15], v[100:101]
	v_add_f64 v[116:117], v[82:83], -v[78:79]
	v_add_f64 v[38:39], v[58:59], v[62:63]
	v_fma_f64 v[100:101], v[108:109], s[12:13], v[100:101]
	v_fma_f64 v[32:33], v[106:107], -0.5, v[32:33]
	v_fma_f64 v[58:59], v[86:87], s[2:3], v[84:85]
	v_fma_f64 v[62:63], v[86:87], s[2:3], v[70:71]
	;; [unrolled: 1-line block ×4, first 2 shown]
	v_add_f64 v[72:73], v[104:105], v[76:77]
	v_fma_f64 v[74:75], v[116:117], s[0:1], v[110:111]
	v_add_f64 v[84:85], v[136:137], -v[80:81]
	v_add_f64 v[86:87], v[34:35], v[146:147]
	v_add_f64 v[104:105], v[88:89], -v[76:77]
	v_fma_f64 v[106:107], v[116:117], s[12:13], v[32:33]
	v_add_f64 v[110:111], v[80:81], -v[136:137]
	v_add_f64 v[102:103], v[82:83], v[78:79]
	v_fma_f64 v[32:33], v[116:117], s[14:15], v[32:33]
	v_fma_f64 v[100:101], v[116:117], s[4:5], v[100:101]
	v_add_f64 v[86:87], v[86:87], v[82:83]
	v_add_f64 v[84:85], v[84:85], v[104:105]
	v_fma_f64 v[104:105], v[108:109], s[0:1], v[106:107]
	v_add_f64 v[106:107], v[110:111], v[118:119]
	v_add_f64 v[110:111], v[146:147], v[90:91]
	v_fma_f64 v[102:103], v[102:103], -0.5, v[34:35]
	v_fma_f64 v[108:109], v[108:109], s[4:5], v[32:33]
	v_add_f64 v[118:119], v[80:81], -v[76:77]
	v_add_f64 v[86:87], v[86:87], v[78:79]
	v_add_f64 v[32:33], v[72:73], v[88:89]
	v_fma_f64 v[72:73], v[84:85], s[2:3], v[74:75]
	v_fma_f64 v[80:81], v[106:107], s[2:3], v[104:105]
	v_fma_f64 v[74:75], v[110:111], -0.5, v[34:35]
	v_add_f64 v[104:105], v[28:29], v[96:97]
	v_fma_f64 v[116:117], v[120:121], s[12:13], v[102:103]
	v_fma_f64 v[76:77], v[84:85], s[2:3], v[100:101]
	;; [unrolled: 1-line block ×3, first 2 shown]
	v_add_f64 v[34:35], v[86:87], v[90:91]
	v_add_f64 v[88:89], v[146:147], -v[82:83]
	v_add_f64 v[100:101], v[90:91], -v[78:79]
	v_fma_f64 v[102:103], v[120:121], s[14:15], v[102:103]
	v_add_f64 v[106:107], v[98:99], v[112:113]
	v_fma_f64 v[108:109], v[118:119], s[14:15], v[74:75]
	v_add_f64 v[82:83], v[82:83], -v[146:147]
	v_add_f64 v[78:79], v[78:79], -v[90:91]
	v_fma_f64 v[74:75], v[118:119], s[12:13], v[74:75]
	v_add_f64 v[90:91], v[104:105], v[98:99]
	v_fma_f64 v[86:87], v[118:119], s[4:5], v[116:117]
	v_add_f64 v[88:89], v[88:89], v[100:101]
	v_fma_f64 v[100:101], v[118:119], s[0:1], v[102:103]
	v_fma_f64 v[102:103], v[106:107], -0.5, v[28:29]
	v_add_f64 v[104:105], v[52:53], -v[94:95]
	v_fma_f64 v[106:107], v[120:121], s[4:5], v[108:109]
	v_add_f64 v[108:109], v[82:83], v[78:79]
	v_fma_f64 v[110:111], v[120:121], s[0:1], v[74:75]
	v_add_f64 v[116:117], v[96:97], v[92:93]
	v_add_f64 v[90:91], v[90:91], v[112:113]
	v_fma_f64 v[74:75], v[88:89], s[2:3], v[86:87]
	v_fma_f64 v[78:79], v[88:89], s[2:3], v[100:101]
	v_fma_f64 v[88:89], v[104:105], s[14:15], v[102:103]
	v_add_f64 v[100:101], v[54:55], -v[114:115]
	v_fma_f64 v[82:83], v[108:109], s[2:3], v[106:107]
	v_fma_f64 v[86:87], v[108:109], s[2:3], v[110:111]
	v_fma_f64 v[106:107], v[116:117], -0.5, v[28:29]
	v_add_f64 v[28:29], v[90:91], v[92:93]
	v_add_f64 v[90:91], v[96:97], -v[98:99]
	v_add_f64 v[108:109], v[92:93], -v[112:113]
	v_fma_f64 v[102:103], v[104:105], s[12:13], v[102:103]
	v_add_f64 v[110:111], v[30:31], v[52:53]
	v_add_f64 v[116:117], v[54:55], v[114:115]
	v_fma_f64 v[88:89], v[100:101], s[0:1], v[88:89]
	v_fma_f64 v[118:119], v[100:101], s[12:13], v[106:107]
	v_add_f64 v[120:121], v[98:99], -v[96:97]
	v_add_f64 v[98:99], v[98:99], -v[112:113]
	v_add_f64 v[90:91], v[90:91], v[108:109]
	v_fma_f64 v[102:103], v[100:101], s[4:5], v[102:103]
	v_fma_f64 v[100:101], v[100:101], s[14:15], v[106:107]
	v_add_f64 v[106:107], v[110:111], v[54:55]
	v_fma_f64 v[108:109], v[116:117], -0.5, v[30:31]
	v_add_f64 v[110:111], v[96:97], -v[92:93]
	v_fma_f64 v[96:97], v[104:105], s[0:1], v[118:119]
	v_add_f64 v[116:117], v[120:121], v[122:123]
	v_fma_f64 v[88:89], v[90:91], s[2:3], v[88:89]
	v_fma_f64 v[92:93], v[90:91], s[2:3], v[102:103]
	;; [unrolled: 1-line block ×3, first 2 shown]
	v_add_f64 v[104:105], v[52:53], v[94:95]
	v_add_f64 v[102:103], v[106:107], v[114:115]
	v_fma_f64 v[106:107], v[110:111], s[12:13], v[108:109]
	v_add_f64 v[112:113], v[22:23], v[48:49]
	v_add_f64 v[118:119], v[52:53], -v[54:55]
	v_add_f64 v[120:121], v[94:95], -v[114:115]
	v_fma_f64 v[108:109], v[110:111], s[14:15], v[108:109]
	v_fma_f64 v[100:101], v[116:117], s[2:3], v[90:91]
	v_fma_f64 v[90:91], v[104:105], -0.5, v[30:31]
	v_add_f64 v[30:31], v[102:103], v[94:95]
	v_fma_f64 v[102:103], v[98:99], s[4:5], v[106:107]
	v_add_f64 v[104:105], v[24:25], v[40:41]
	v_fma_f64 v[106:107], v[112:113], -0.5, v[24:25]
	v_add_f64 v[112:113], v[20:21], -v[42:43]
	v_fma_f64 v[96:97], v[116:117], s[2:3], v[96:97]
	v_add_f64 v[116:117], v[118:119], v[120:121]
	v_fma_f64 v[118:119], v[98:99], s[14:15], v[90:91]
	v_add_f64 v[52:53], v[54:55], -v[52:53]
	v_add_f64 v[54:55], v[114:115], -v[94:95]
	v_fma_f64 v[90:91], v[98:99], s[12:13], v[90:91]
	v_add_f64 v[94:95], v[104:105], v[22:23]
	v_fma_f64 v[104:105], v[112:113], s[14:15], v[106:107]
	v_add_f64 v[114:115], v[46:47], -v[44:45]
	v_add_f64 v[120:121], v[40:41], -v[22:23]
	;; [unrolled: 1-line block ×3, first 2 shown]
	v_fma_f64 v[98:99], v[98:99], s[0:1], v[108:109]
	v_add_f64 v[108:109], v[40:41], v[50:51]
	v_add_f64 v[52:53], v[52:53], v[54:55]
	v_fma_f64 v[54:55], v[110:111], s[0:1], v[90:91]
	v_fma_f64 v[118:119], v[110:111], s[4:5], v[118:119]
	;; [unrolled: 1-line block ×3, first 2 shown]
	v_add_f64 v[110:111], v[94:95], v[48:49]
	v_add_f64 v[120:121], v[120:121], v[122:123]
	v_fma_f64 v[90:91], v[116:117], s[2:3], v[102:103]
	v_fma_f64 v[108:109], v[108:109], -0.5, v[24:25]
	v_fma_f64 v[94:95], v[116:117], s[2:3], v[98:99]
	v_fma_f64 v[102:103], v[52:53], s[2:3], v[54:55]
	v_add_f64 v[54:55], v[46:47], v[44:45]
	v_add_f64 v[116:117], v[20:21], v[42:43]
	v_fma_f64 v[98:99], v[52:53], s[2:3], v[118:119]
	v_fma_f64 v[52:53], v[120:121], s[2:3], v[104:105]
	;; [unrolled: 1-line block ×4, first 2 shown]
	v_add_f64 v[122:123], v[26:27], v[20:21]
	v_add_f64 v[24:25], v[110:111], v[50:51]
	v_add_f64 v[110:111], v[22:23], -v[40:41]
	v_add_f64 v[118:119], v[48:49], -v[50:51]
	v_fma_f64 v[54:55], v[54:55], -0.5, v[26:27]
	v_add_f64 v[40:41], v[40:41], -v[50:51]
	v_add_f64 v[22:23], v[22:23], -v[48:49]
	v_fma_f64 v[26:27], v[116:117], -0.5, v[26:27]
	v_fma_f64 v[50:51], v[114:115], s[4:5], v[104:105]
	v_fma_f64 v[104:105], v[112:113], s[0:1], v[106:107]
	;; [unrolled: 1-line block ×3, first 2 shown]
	v_add_f64 v[108:109], v[122:123], v[46:47]
	v_add_f64 v[48:49], v[110:111], v[118:119]
	v_fma_f64 v[110:111], v[40:41], s[12:13], v[54:55]
	v_add_f64 v[114:115], v[20:21], -v[46:47]
	v_add_f64 v[116:117], v[42:43], -v[44:45]
	v_fma_f64 v[118:119], v[22:23], s[14:15], v[26:27]
	v_add_f64 v[20:21], v[46:47], -v[20:21]
	v_add_f64 v[46:47], v[44:45], -v[42:43]
	v_fma_f64 v[26:27], v[22:23], s[12:13], v[26:27]
	v_fma_f64 v[54:55], v[40:41], s[14:15], v[54:55]
	v_add_f64 v[108:109], v[108:109], v[44:45]
	v_fma_f64 v[106:107], v[112:113], s[4:5], v[106:107]
	v_fma_f64 v[110:111], v[22:23], s[4:5], v[110:111]
	v_add_f64 v[112:113], v[114:115], v[116:117]
	v_fma_f64 v[114:115], v[40:41], s[4:5], v[118:119]
	v_add_f64 v[46:47], v[20:21], v[46:47]
	v_fma_f64 v[116:117], v[40:41], s[0:1], v[26:27]
	v_fma_f64 v[22:23], v[22:23], s[0:1], v[54:55]
	v_add_f64 v[26:27], v[108:109], v[42:43]
	v_fma_f64 v[40:41], v[48:49], s[2:3], v[104:105]
	ds_write_b128 v174, v[16:19]
	ds_write_b128 v134, v[12:15] offset:5200
	ds_write_b128 v134, v[8:11] offset:10400
	;; [unrolled: 1-line block ×10, first 2 shown]
	v_fma_f64 v[54:55], v[112:113], s[2:3], v[110:111]
	v_add_u32_e32 v0, 0x820, v174
	v_fma_f64 v[42:43], v[46:47], s[2:3], v[114:115]
	v_fma_f64 v[20:21], v[120:121], s[2:3], v[50:51]
	;; [unrolled: 1-line block ×4, first 2 shown]
	ds_write_b128 v0, v[72:75] offset:5200
	ds_write_b128 v0, v[80:83] offset:10400
	;; [unrolled: 1-line block ×5, first 2 shown]
	v_add_u32_e32 v0, 0xc30, v174
	v_fma_f64 v[22:23], v[112:113], s[2:3], v[22:23]
	ds_write_b128 v0, v[88:91] offset:5200
	ds_write_b128 v0, v[96:99] offset:10400
	;; [unrolled: 1-line block ×9, first 2 shown]
	s_waitcnt lgkmcnt(0)
	s_barrier
	ds_read_b128 v[0:3], v174
	buffer_load_dword v4, off, s[52:55], 0 offset:4 ; 4-byte Folded Reload
	buffer_load_dword v5, off, s[52:55], 0 offset:8 ; 4-byte Folded Reload
	buffer_load_dword v17, off, s[52:55], 0 offset:204 ; 4-byte Folded Reload
	buffer_load_dword v18, off, s[52:55], 0 offset:208 ; 4-byte Folded Reload
	buffer_load_dword v19, off, s[52:55], 0 offset:212 ; 4-byte Folded Reload
	buffer_load_dword v20, off, s[52:55], 0 offset:216 ; 4-byte Folded Reload
	s_mov_b32 s2, 0x6615bd85
	s_mov_b32 s3, 0x3f442a38
	s_waitcnt vmcnt(5)
	v_mov_b32_e32 v14, v4
	s_waitcnt vmcnt(0) lgkmcnt(0)
	v_mul_f64 v[10:11], v[19:20], v[2:3]
	v_mul_f64 v[12:13], v[19:20], v[0:1]
	buffer_load_dword v19, off, s[52:55], 0 ; 4-byte Folded Reload
	v_mad_u64_u32 v[8:9], s[0:1], s10, v14, 0
	ds_read_b128 v[4:7], v174 offset:2000
	v_mad_u64_u32 v[14:15], s[0:1], s11, v14, v[9:10]
	v_fma_f64 v[0:1], v[17:18], v[0:1], v[10:11]
	v_fma_f64 v[2:3], v[17:18], v[2:3], -v[12:13]
	v_mov_b32_e32 v9, v14
	v_lshlrev_b64 v[8:9], 4, v[8:9]
	v_mov_b32_e32 v14, s7
	v_mul_f64 v[0:1], v[0:1], s[2:3]
	v_mul_f64 v[2:3], v[2:3], s[2:3]
	s_waitcnt vmcnt(0)
	v_mad_u64_u32 v[15:16], s[0:1], s8, v19, 0
	v_mov_b32_e32 v10, v16
	v_mad_u64_u32 v[10:11], s[0:1], s9, v19, v[10:11]
	buffer_load_dword v19, off, s[52:55], 0 offset:124 ; 4-byte Folded Reload
	buffer_load_dword v20, off, s[52:55], 0 offset:128 ; 4-byte Folded Reload
	buffer_load_dword v21, off, s[52:55], 0 offset:132 ; 4-byte Folded Reload
	buffer_load_dword v22, off, s[52:55], 0 offset:136 ; 4-byte Folded Reload
	v_add_co_u32_e64 v17, s[0:1], s6, v8
	v_mov_b32_e32 v16, v10
	v_addc_co_u32_e64 v18, s[0:1], v14, v9, s[0:1]
	v_lshlrev_b64 v[8:9], 4, v[15:16]
	v_add_co_u32_e64 v14, s[0:1], v17, v8
	v_addc_co_u32_e64 v15, s[0:1], v18, v9, s[0:1]
	global_store_dwordx4 v[14:15], v[0:3], off
	s_mul_i32 s0, s9, 0x7d
	s_mul_hi_u32 s1, s8, 0x7d
	s_add_i32 s1, s1, s0
	s_mul_i32 s0, s8, 0x7d
	s_lshl_b64 s[4:5], s[0:1], 4
	v_mov_b32_e32 v26, s5
	v_add_co_u32_e64 v14, s[0:1], s4, v14
	v_addc_co_u32_e64 v15, s[0:1], v15, v26, s[0:1]
	s_waitcnt vmcnt(1) lgkmcnt(0)
	v_mul_f64 v[10:11], v[21:22], v[6:7]
	v_mul_f64 v[12:13], v[21:22], v[4:5]
	v_fma_f64 v[10:11], v[19:20], v[4:5], v[10:11]
	v_fma_f64 v[12:13], v[19:20], v[6:7], -v[12:13]
	ds_read_b128 v[4:7], v174 offset:4000
	v_mul_f64 v[0:1], v[10:11], s[2:3]
	ds_read_b128 v[8:11], v174 offset:6000
	buffer_load_dword v18, off, s[52:55], 0 offset:28 ; 4-byte Folded Reload
	buffer_load_dword v19, off, s[52:55], 0 offset:32 ; 4-byte Folded Reload
	;; [unrolled: 1-line block ×4, first 2 shown]
	v_mul_f64 v[2:3], v[12:13], s[2:3]
	s_waitcnt vmcnt(0) lgkmcnt(1)
	v_mul_f64 v[12:13], v[20:21], v[6:7]
	v_mul_f64 v[16:17], v[20:21], v[4:5]
	buffer_load_dword v20, off, s[52:55], 0 offset:140 ; 4-byte Folded Reload
	buffer_load_dword v21, off, s[52:55], 0 offset:144 ; 4-byte Folded Reload
	;; [unrolled: 1-line block ×4, first 2 shown]
	v_fma_f64 v[4:5], v[18:19], v[4:5], v[12:13]
	v_fma_f64 v[12:13], v[18:19], v[6:7], -v[16:17]
	global_store_dwordx4 v[14:15], v[0:3], off
	v_add_co_u32_e64 v14, s[0:1], s4, v14
	v_addc_co_u32_e64 v15, s[0:1], v15, v26, s[0:1]
	v_mul_f64 v[0:1], v[4:5], s[2:3]
	ds_read_b128 v[4:7], v174 offset:8000
	v_mul_f64 v[2:3], v[12:13], s[2:3]
	s_waitcnt vmcnt(1) lgkmcnt(1)
	v_mul_f64 v[16:17], v[22:23], v[10:11]
	v_mul_f64 v[18:19], v[22:23], v[8:9]
	v_fma_f64 v[12:13], v[20:21], v[8:9], v[16:17]
	v_fma_f64 v[16:17], v[20:21], v[10:11], -v[18:19]
	ds_read_b128 v[8:11], v174 offset:10000
	buffer_load_dword v22, off, s[52:55], 0 offset:44 ; 4-byte Folded Reload
	buffer_load_dword v23, off, s[52:55], 0 offset:48 ; 4-byte Folded Reload
	;; [unrolled: 1-line block ×4, first 2 shown]
	s_waitcnt vmcnt(0) lgkmcnt(1)
	v_mul_f64 v[18:19], v[24:25], v[6:7]
	v_mul_f64 v[20:21], v[24:25], v[4:5]
	global_store_dwordx4 v[14:15], v[0:3], off
	v_add_co_u32_e64 v14, s[0:1], s4, v14
	v_mul_f64 v[0:1], v[12:13], s[2:3]
	v_mul_f64 v[2:3], v[16:17], s[2:3]
	v_addc_co_u32_e64 v15, s[0:1], v15, v26, s[0:1]
	v_fma_f64 v[4:5], v[22:23], v[4:5], v[18:19]
	v_fma_f64 v[12:13], v[22:23], v[6:7], -v[20:21]
	buffer_load_dword v20, off, s[52:55], 0 offset:156 ; 4-byte Folded Reload
	buffer_load_dword v21, off, s[52:55], 0 offset:160 ; 4-byte Folded Reload
	;; [unrolled: 1-line block ×4, first 2 shown]
	s_waitcnt vmcnt(0) lgkmcnt(0)
	v_mul_f64 v[16:17], v[22:23], v[10:11]
	v_mul_f64 v[18:19], v[22:23], v[8:9]
	global_store_dwordx4 v[14:15], v[0:3], off
	v_add_co_u32_e64 v14, s[0:1], s4, v14
	v_mul_f64 v[0:1], v[4:5], s[2:3]
	ds_read_b128 v[4:7], v174 offset:12000
	v_mul_f64 v[2:3], v[12:13], s[2:3]
	v_fma_f64 v[12:13], v[20:21], v[8:9], v[16:17]
	v_fma_f64 v[16:17], v[20:21], v[10:11], -v[18:19]
	ds_read_b128 v[8:11], v174 offset:14000
	buffer_load_dword v22, off, s[52:55], 0 offset:60 ; 4-byte Folded Reload
	buffer_load_dword v23, off, s[52:55], 0 offset:64 ; 4-byte Folded Reload
	;; [unrolled: 1-line block ×4, first 2 shown]
	v_addc_co_u32_e64 v15, s[0:1], v15, v26, s[0:1]
	global_store_dwordx4 v[14:15], v[0:3], off
	s_nop 0
	v_mul_f64 v[0:1], v[12:13], s[2:3]
	v_mul_f64 v[2:3], v[16:17], s[2:3]
	v_add_co_u32_e64 v14, s[0:1], s4, v14
	v_addc_co_u32_e64 v15, s[0:1], v15, v26, s[0:1]
	s_waitcnt vmcnt(1) lgkmcnt(1)
	v_mul_f64 v[18:19], v[24:25], v[6:7]
	v_mul_f64 v[20:21], v[24:25], v[4:5]
	v_fma_f64 v[4:5], v[22:23], v[4:5], v[18:19]
	v_fma_f64 v[12:13], v[22:23], v[6:7], -v[20:21]
	buffer_load_dword v20, off, s[52:55], 0 offset:172 ; 4-byte Folded Reload
	buffer_load_dword v21, off, s[52:55], 0 offset:176 ; 4-byte Folded Reload
	buffer_load_dword v22, off, s[52:55], 0 offset:180 ; 4-byte Folded Reload
	buffer_load_dword v23, off, s[52:55], 0 offset:184 ; 4-byte Folded Reload
	s_waitcnt vmcnt(0) lgkmcnt(0)
	v_mul_f64 v[16:17], v[22:23], v[10:11]
	v_mul_f64 v[18:19], v[22:23], v[8:9]
	global_store_dwordx4 v[14:15], v[0:3], off
	v_add_co_u32_e64 v14, s[0:1], s4, v14
	v_mul_f64 v[0:1], v[4:5], s[2:3]
	ds_read_b128 v[4:7], v174 offset:16000
	v_mul_f64 v[2:3], v[12:13], s[2:3]
	v_fma_f64 v[12:13], v[20:21], v[8:9], v[16:17]
	v_fma_f64 v[16:17], v[20:21], v[10:11], -v[18:19]
	ds_read_b128 v[8:11], v174 offset:18000
	buffer_load_dword v22, off, s[52:55], 0 offset:76 ; 4-byte Folded Reload
	buffer_load_dword v23, off, s[52:55], 0 offset:80 ; 4-byte Folded Reload
	;; [unrolled: 1-line block ×4, first 2 shown]
	v_addc_co_u32_e64 v15, s[0:1], v15, v26, s[0:1]
	global_store_dwordx4 v[14:15], v[0:3], off
	s_nop 0
	v_mul_f64 v[0:1], v[12:13], s[2:3]
	v_mul_f64 v[2:3], v[16:17], s[2:3]
	v_add_co_u32_e64 v14, s[0:1], s4, v14
	v_addc_co_u32_e64 v15, s[0:1], v15, v26, s[0:1]
	s_waitcnt vmcnt(1) lgkmcnt(1)
	v_mul_f64 v[18:19], v[24:25], v[6:7]
	v_mul_f64 v[20:21], v[24:25], v[4:5]
	v_fma_f64 v[4:5], v[22:23], v[4:5], v[18:19]
	v_fma_f64 v[12:13], v[22:23], v[6:7], -v[20:21]
	buffer_load_dword v20, off, s[52:55], 0 offset:188 ; 4-byte Folded Reload
	buffer_load_dword v21, off, s[52:55], 0 offset:192 ; 4-byte Folded Reload
	;; [unrolled: 1-line block ×4, first 2 shown]
	s_waitcnt vmcnt(0) lgkmcnt(0)
	v_mul_f64 v[16:17], v[22:23], v[10:11]
	v_mul_f64 v[18:19], v[22:23], v[8:9]
	global_store_dwordx4 v[14:15], v[0:3], off
	v_add_co_u32_e64 v22, s[0:1], s4, v14
	v_mul_f64 v[0:1], v[4:5], s[2:3]
	ds_read_b128 v[4:7], v174 offset:20000
	v_mul_f64 v[2:3], v[12:13], s[2:3]
	v_fma_f64 v[12:13], v[20:21], v[8:9], v[16:17]
	v_fma_f64 v[16:17], v[20:21], v[10:11], -v[18:19]
	ds_read_b128 v[8:11], v174 offset:22000
	buffer_load_dword v27, off, s[52:55], 0 offset:12 ; 4-byte Folded Reload
	buffer_load_dword v28, off, s[52:55], 0 offset:16 ; 4-byte Folded Reload
	;; [unrolled: 1-line block ×4, first 2 shown]
	v_addc_co_u32_e64 v23, s[0:1], v15, v26, s[0:1]
	global_store_dwordx4 v[22:23], v[0:3], off
	s_nop 0
	v_mul_f64 v[0:1], v[12:13], s[2:3]
	ds_read_b128 v[12:15], v174 offset:24000
	v_mul_f64 v[2:3], v[16:17], s[2:3]
	v_add_co_u32_e64 v22, s[0:1], s4, v22
	v_addc_co_u32_e64 v23, s[0:1], v23, v26, s[0:1]
	s_waitcnt vmcnt(1) lgkmcnt(2)
	v_mul_f64 v[18:19], v[29:30], v[6:7]
	v_mul_f64 v[20:21], v[29:30], v[4:5]
	v_fma_f64 v[4:5], v[27:28], v[4:5], v[18:19]
	v_fma_f64 v[6:7], v[27:28], v[6:7], -v[20:21]
	buffer_load_dword v27, off, s[52:55], 0 offset:92 ; 4-byte Folded Reload
	buffer_load_dword v28, off, s[52:55], 0 offset:96 ; 4-byte Folded Reload
	;; [unrolled: 1-line block ×4, first 2 shown]
	s_waitcnt vmcnt(0) lgkmcnt(1)
	v_mul_f64 v[16:17], v[29:30], v[10:11]
	v_mul_f64 v[18:19], v[29:30], v[8:9]
	buffer_load_dword v29, off, s[52:55], 0 offset:108 ; 4-byte Folded Reload
	buffer_load_dword v30, off, s[52:55], 0 offset:112 ; 4-byte Folded Reload
	buffer_load_dword v31, off, s[52:55], 0 offset:116 ; 4-byte Folded Reload
	buffer_load_dword v32, off, s[52:55], 0 offset:120 ; 4-byte Folded Reload
	s_waitcnt vmcnt(0) lgkmcnt(0)
	v_mul_f64 v[20:21], v[31:32], v[14:15]
	v_mul_f64 v[24:25], v[31:32], v[12:13]
	global_store_dwordx4 v[22:23], v[0:3], off
	s_nop 0
	v_mul_f64 v[0:1], v[4:5], s[2:3]
	v_mul_f64 v[2:3], v[6:7], s[2:3]
	v_fma_f64 v[4:5], v[27:28], v[8:9], v[16:17]
	v_fma_f64 v[6:7], v[27:28], v[10:11], -v[18:19]
	v_fma_f64 v[8:9], v[29:30], v[12:13], v[20:21]
	v_fma_f64 v[10:11], v[29:30], v[14:15], -v[24:25]
	v_add_co_u32_e64 v12, s[0:1], s4, v22
	v_addc_co_u32_e64 v13, s[0:1], v23, v26, s[0:1]
	v_mul_f64 v[4:5], v[4:5], s[2:3]
	v_mul_f64 v[6:7], v[6:7], s[2:3]
	;; [unrolled: 1-line block ×4, first 2 shown]
	global_store_dwordx4 v[12:13], v[0:3], off
	s_nop 0
	v_add_co_u32_e64 v0, s[0:1], s4, v12
	v_addc_co_u32_e64 v1, s[0:1], v13, v26, s[0:1]
	global_store_dwordx4 v[0:1], v[4:7], off
	v_add_co_u32_e64 v0, s[0:1], s4, v0
	v_addc_co_u32_e64 v1, s[0:1], v1, v26, s[0:1]
	global_store_dwordx4 v[0:1], v[8:11], off
	s_and_b64 exec, exec, vcc
	s_cbranch_execz .LBB0_15
; %bb.14:
	global_load_dwordx4 v[2:5], v[128:129], off offset:1040
	ds_read_b128 v[6:9], v134 offset:1040
	v_mov_b32_e32 v16, s5
	s_waitcnt vmcnt(0) lgkmcnt(0)
	v_mul_f64 v[10:11], v[8:9], v[4:5]
	v_mul_f64 v[4:5], v[6:7], v[4:5]
	v_fma_f64 v[6:7], v[6:7], v[2:3], v[10:11]
	v_fma_f64 v[4:5], v[2:3], v[8:9], -v[4:5]
	v_mul_f64 v[2:3], v[6:7], s[2:3]
	v_mul_f64 v[4:5], v[4:5], s[2:3]
	v_mov_b32_e32 v6, 0xffffa650
	v_mad_u64_u32 v[12:13], s[0:1], s8, v6, v[0:1]
	s_mul_i32 s0, s9, 0xffffa650
	s_sub_i32 s0, s0, s8
	v_add_u32_e32 v13, s0, v13
	s_movk_i32 s0, 0x1000
	global_store_dwordx4 v[12:13], v[2:5], off
	global_load_dwordx4 v[0:3], v[128:129], off offset:3040
	ds_read_b128 v[4:7], v174 offset:3040
	ds_read_b128 v[8:11], v174 offset:5040
	s_waitcnt vmcnt(0) lgkmcnt(1)
	v_mul_f64 v[14:15], v[6:7], v[2:3]
	v_mul_f64 v[2:3], v[4:5], v[2:3]
	v_fma_f64 v[4:5], v[4:5], v[0:1], v[14:15]
	v_fma_f64 v[2:3], v[0:1], v[6:7], -v[2:3]
	v_mul_f64 v[0:1], v[4:5], s[2:3]
	v_mul_f64 v[2:3], v[2:3], s[2:3]
	v_add_co_u32_e32 v4, vcc, s0, v128
	v_addc_co_u32_e32 v5, vcc, 0, v129, vcc
	v_add_co_u32_e32 v6, vcc, s4, v12
	v_addc_co_u32_e32 v7, vcc, v13, v16, vcc
	global_store_dwordx4 v[6:7], v[0:3], off
	global_load_dwordx4 v[0:3], v[4:5], off offset:944
	s_movk_i32 s0, 0x2000
	s_waitcnt vmcnt(0) lgkmcnt(0)
	v_mul_f64 v[12:13], v[10:11], v[2:3]
	v_mul_f64 v[2:3], v[8:9], v[2:3]
	v_fma_f64 v[8:9], v[8:9], v[0:1], v[12:13]
	v_fma_f64 v[2:3], v[0:1], v[10:11], -v[2:3]
	v_add_co_u32_e32 v12, vcc, s4, v6
	v_addc_co_u32_e32 v13, vcc, v7, v16, vcc
	v_mul_f64 v[0:1], v[8:9], s[2:3]
	v_mul_f64 v[2:3], v[2:3], s[2:3]
	global_store_dwordx4 v[12:13], v[0:3], off
	global_load_dwordx4 v[0:3], v[4:5], off offset:2944
	ds_read_b128 v[4:7], v174 offset:7040
	ds_read_b128 v[8:11], v174 offset:9040
	s_waitcnt vmcnt(0) lgkmcnt(1)
	v_mul_f64 v[14:15], v[6:7], v[2:3]
	v_mul_f64 v[2:3], v[4:5], v[2:3]
	v_fma_f64 v[4:5], v[4:5], v[0:1], v[14:15]
	v_fma_f64 v[2:3], v[0:1], v[6:7], -v[2:3]
	v_mul_f64 v[0:1], v[4:5], s[2:3]
	v_mul_f64 v[2:3], v[2:3], s[2:3]
	v_add_co_u32_e32 v4, vcc, s0, v128
	v_addc_co_u32_e32 v5, vcc, 0, v129, vcc
	v_add_co_u32_e32 v6, vcc, s4, v12
	v_addc_co_u32_e32 v7, vcc, v13, v16, vcc
	global_store_dwordx4 v[6:7], v[0:3], off
	global_load_dwordx4 v[0:3], v[4:5], off offset:848
	s_movk_i32 s0, 0x3000
	s_waitcnt vmcnt(0) lgkmcnt(0)
	v_mul_f64 v[12:13], v[10:11], v[2:3]
	v_mul_f64 v[2:3], v[8:9], v[2:3]
	v_fma_f64 v[8:9], v[8:9], v[0:1], v[12:13]
	v_fma_f64 v[2:3], v[0:1], v[10:11], -v[2:3]
	v_add_co_u32_e32 v12, vcc, s4, v6
	v_addc_co_u32_e32 v13, vcc, v7, v16, vcc
	v_mul_f64 v[0:1], v[8:9], s[2:3]
	v_mul_f64 v[2:3], v[2:3], s[2:3]
	;; [unrolled: 27-line block ×5, first 2 shown]
	global_store_dwordx4 v[12:13], v[0:3], off
	global_load_dwordx4 v[0:3], v[4:5], off offset:2560
	ds_read_b128 v[4:7], v174 offset:23040
	ds_read_b128 v[8:11], v174 offset:25040
	s_waitcnt vmcnt(0) lgkmcnt(1)
	v_mul_f64 v[14:15], v[6:7], v[2:3]
	v_mul_f64 v[2:3], v[4:5], v[2:3]
	v_fma_f64 v[4:5], v[4:5], v[0:1], v[14:15]
	v_fma_f64 v[2:3], v[0:1], v[6:7], -v[2:3]
	v_mul_f64 v[0:1], v[4:5], s[2:3]
	v_mul_f64 v[2:3], v[2:3], s[2:3]
	v_add_co_u32_e32 v4, vcc, s0, v128
	v_addc_co_u32_e32 v5, vcc, 0, v129, vcc
	v_add_co_u32_e32 v6, vcc, s4, v12
	v_addc_co_u32_e32 v7, vcc, v13, v16, vcc
	global_store_dwordx4 v[6:7], v[0:3], off
	global_load_dwordx4 v[0:3], v[4:5], off offset:464
	s_waitcnt vmcnt(0) lgkmcnt(0)
	v_mul_f64 v[4:5], v[10:11], v[2:3]
	v_mul_f64 v[2:3], v[8:9], v[2:3]
	v_fma_f64 v[4:5], v[8:9], v[0:1], v[4:5]
	v_fma_f64 v[2:3], v[0:1], v[10:11], -v[2:3]
	v_mul_f64 v[0:1], v[4:5], s[2:3]
	v_mul_f64 v[2:3], v[2:3], s[2:3]
	v_add_co_u32_e32 v4, vcc, s4, v6
	v_addc_co_u32_e32 v5, vcc, v7, v16, vcc
	global_store_dwordx4 v[4:5], v[0:3], off
.LBB0_15:
	s_endpgm
	.section	.rodata,"a",@progbits
	.p2align	6, 0x0
	.amdhsa_kernel bluestein_single_back_len1625_dim1_dp_op_CI_CI
		.amdhsa_group_segment_fixed_size 52000
		.amdhsa_private_segment_fixed_size 836
		.amdhsa_kernarg_size 104
		.amdhsa_user_sgpr_count 6
		.amdhsa_user_sgpr_private_segment_buffer 1
		.amdhsa_user_sgpr_dispatch_ptr 0
		.amdhsa_user_sgpr_queue_ptr 0
		.amdhsa_user_sgpr_kernarg_segment_ptr 1
		.amdhsa_user_sgpr_dispatch_id 0
		.amdhsa_user_sgpr_flat_scratch_init 0
		.amdhsa_user_sgpr_private_segment_size 0
		.amdhsa_uses_dynamic_stack 0
		.amdhsa_system_sgpr_private_segment_wavefront_offset 1
		.amdhsa_system_sgpr_workgroup_id_x 1
		.amdhsa_system_sgpr_workgroup_id_y 0
		.amdhsa_system_sgpr_workgroup_id_z 0
		.amdhsa_system_sgpr_workgroup_info 0
		.amdhsa_system_vgpr_workitem_id 0
		.amdhsa_next_free_vgpr 256
		.amdhsa_next_free_sgpr 56
		.amdhsa_reserve_vcc 1
		.amdhsa_reserve_flat_scratch 0
		.amdhsa_float_round_mode_32 0
		.amdhsa_float_round_mode_16_64 0
		.amdhsa_float_denorm_mode_32 3
		.amdhsa_float_denorm_mode_16_64 3
		.amdhsa_dx10_clamp 1
		.amdhsa_ieee_mode 1
		.amdhsa_fp16_overflow 0
		.amdhsa_exception_fp_ieee_invalid_op 0
		.amdhsa_exception_fp_denorm_src 0
		.amdhsa_exception_fp_ieee_div_zero 0
		.amdhsa_exception_fp_ieee_overflow 0
		.amdhsa_exception_fp_ieee_underflow 0
		.amdhsa_exception_fp_ieee_inexact 0
		.amdhsa_exception_int_div_zero 0
	.end_amdhsa_kernel
	.text
.Lfunc_end0:
	.size	bluestein_single_back_len1625_dim1_dp_op_CI_CI, .Lfunc_end0-bluestein_single_back_len1625_dim1_dp_op_CI_CI
                                        ; -- End function
	.section	.AMDGPU.csdata,"",@progbits
; Kernel info:
; codeLenInByte = 46832
; NumSgprs: 60
; NumVgprs: 256
; ScratchSize: 836
; MemoryBound: 0
; FloatMode: 240
; IeeeMode: 1
; LDSByteSize: 52000 bytes/workgroup (compile time only)
; SGPRBlocks: 7
; VGPRBlocks: 63
; NumSGPRsForWavesPerEU: 60
; NumVGPRsForWavesPerEU: 256
; Occupancy: 1
; WaveLimiterHint : 1
; COMPUTE_PGM_RSRC2:SCRATCH_EN: 1
; COMPUTE_PGM_RSRC2:USER_SGPR: 6
; COMPUTE_PGM_RSRC2:TRAP_HANDLER: 0
; COMPUTE_PGM_RSRC2:TGID_X_EN: 1
; COMPUTE_PGM_RSRC2:TGID_Y_EN: 0
; COMPUTE_PGM_RSRC2:TGID_Z_EN: 0
; COMPUTE_PGM_RSRC2:TIDIG_COMP_CNT: 0
	.type	__hip_cuid_b123320ebe60f483,@object ; @__hip_cuid_b123320ebe60f483
	.section	.bss,"aw",@nobits
	.globl	__hip_cuid_b123320ebe60f483
__hip_cuid_b123320ebe60f483:
	.byte	0                               ; 0x0
	.size	__hip_cuid_b123320ebe60f483, 1

	.ident	"AMD clang version 19.0.0git (https://github.com/RadeonOpenCompute/llvm-project roc-6.4.0 25133 c7fe45cf4b819c5991fe208aaa96edf142730f1d)"
	.section	".note.GNU-stack","",@progbits
	.addrsig
	.addrsig_sym __hip_cuid_b123320ebe60f483
	.amdgpu_metadata
---
amdhsa.kernels:
  - .args:
      - .actual_access:  read_only
        .address_space:  global
        .offset:         0
        .size:           8
        .value_kind:     global_buffer
      - .actual_access:  read_only
        .address_space:  global
        .offset:         8
        .size:           8
        .value_kind:     global_buffer
      - .actual_access:  read_only
        .address_space:  global
        .offset:         16
        .size:           8
        .value_kind:     global_buffer
      - .actual_access:  read_only
        .address_space:  global
        .offset:         24
        .size:           8
        .value_kind:     global_buffer
      - .actual_access:  read_only
        .address_space:  global
        .offset:         32
        .size:           8
        .value_kind:     global_buffer
      - .offset:         40
        .size:           8
        .value_kind:     by_value
      - .address_space:  global
        .offset:         48
        .size:           8
        .value_kind:     global_buffer
      - .address_space:  global
        .offset:         56
        .size:           8
        .value_kind:     global_buffer
      - .address_space:  global
        .offset:         64
        .size:           8
        .value_kind:     global_buffer
      - .address_space:  global
        .offset:         72
        .size:           8
        .value_kind:     global_buffer
      - .offset:         80
        .size:           4
        .value_kind:     by_value
      - .address_space:  global
        .offset:         88
        .size:           8
        .value_kind:     global_buffer
      - .address_space:  global
        .offset:         96
        .size:           8
        .value_kind:     global_buffer
    .group_segment_fixed_size: 52000
    .kernarg_segment_align: 8
    .kernarg_segment_size: 104
    .language:       OpenCL C
    .language_version:
      - 2
      - 0
    .max_flat_workgroup_size: 130
    .name:           bluestein_single_back_len1625_dim1_dp_op_CI_CI
    .private_segment_fixed_size: 836
    .sgpr_count:     60
    .sgpr_spill_count: 0
    .symbol:         bluestein_single_back_len1625_dim1_dp_op_CI_CI.kd
    .uniform_work_group_size: 1
    .uses_dynamic_stack: false
    .vgpr_count:     256
    .vgpr_spill_count: 208
    .wavefront_size: 64
amdhsa.target:   amdgcn-amd-amdhsa--gfx906
amdhsa.version:
  - 1
  - 2
...

	.end_amdgpu_metadata
